;; amdgpu-corpus repo=ggml-org/llama.cpp kind=compiled arch=gfx950 opt=O3
	.amdgcn_target "amdgcn-amd-amdhsa--gfx950"
	.amdhsa_code_object_version 6
	.section	.text._Z13topk_moe_cudaILi1ELb1EEvPKfPfPiS2_iiff15topk_moe_config,"axG",@progbits,_Z13topk_moe_cudaILi1ELb1EEvPKfPfPiS2_iiff15topk_moe_config,comdat
	.protected	_Z13topk_moe_cudaILi1ELb1EEvPKfPfPiS2_iiff15topk_moe_config ; -- Begin function _Z13topk_moe_cudaILi1ELb1EEvPKfPfPiS2_iiff15topk_moe_config
	.globl	_Z13topk_moe_cudaILi1ELb1EEvPKfPfPiS2_iiff15topk_moe_config
	.p2align	8
	.type	_Z13topk_moe_cudaILi1ELb1EEvPKfPfPiS2_iiff15topk_moe_config,@function
_Z13topk_moe_cudaILi1ELb1EEvPKfPfPiS2_iiff15topk_moe_config: ; @_Z13topk_moe_cudaILi1ELb1EEvPKfPfPiS2_iiff15topk_moe_config
; %bb.0:
	s_load_dword s3, s[0:1], 0x44
	s_load_dwordx4 s[12:15], s[0:1], 0x20
	v_bfe_u32 v1, v0, 10, 10
	s_waitcnt lgkmcnt(0)
	s_lshr_b32 s3, s3, 16
	s_mul_i32 s2, s2, s3
	v_add_u32_e32 v2, s2, v1
	v_cmp_gt_i32_e32 vcc, s12, v2
	s_and_saveexec_b64 s[2:3], vcc
	s_cbranch_execz .LBB0_37
; %bb.1:
	v_mov_b32_e32 v3, 0
	global_load_ushort v1, v3, s[0:1] offset:48
	global_load_sbyte v4, v3, s[0:1] offset:50
	s_load_dwordx8 s[4:11], s[0:1], 0x0
	v_and_b32_e32 v11, 0x3ff, v0
	v_ashrrev_i32_e32 v3, 31, v2
	v_cmp_eq_u32_e64 s[2:3], 0, v11
	v_mov_b32_e32 v0, 0xff800000
	s_waitcnt vmcnt(1)
	v_readfirstlane_b32 s12, v1
	s_and_saveexec_b64 s[0:1], s[2:3]
	s_cbranch_execz .LBB0_3
; %bb.2:
	s_waitcnt lgkmcnt(0)
	v_mov_b32_e32 v6, s4
	v_mov_b32_e32 v7, s5
	v_lshl_add_u64 v[6:7], v[2:3], 2, v[6:7]
	global_load_dword v0, v[6:7], off
.LBB0_3:
	s_or_b64 exec, exec, s[0:1]
	s_waitcnt vmcnt(0)
	v_and_b32_e32 v4, 1, v4
	v_cmp_eq_u32_e64 s[0:1], 1, v4
	s_and_b64 vcc, exec, s[0:1]
	s_cbranch_vccnz .LBB0_9
; %bb.4:
	v_and_b32_e32 v1, 1, v1
	v_cmp_eq_u32_e32 vcc, 0, v1
	s_cbranch_vccz .LBB0_6
; %bb.5:
	v_mbcnt_lo_u32_b32 v4, -1, 0
	v_mbcnt_hi_u32_b32 v4, -1, v4
	v_and_b32_e32 v5, 0x60, v4
	v_add_u32_e32 v5, 32, v5
	v_xor_b32_e32 v6, 16, v4
	v_cmp_lt_i32_e32 vcc, v6, v5
	v_max_f32_e32 v1, v0, v0
	v_max_f32_e32 v1, 0xff800000, v1
	v_cndmask_b32_e32 v6, v4, v6, vcc
	v_lshlrev_b32_e32 v6, 2, v6
	ds_bpermute_b32 v7, v6, v1
	s_waitcnt lgkmcnt(0)
	s_mov_b32 s4, 0x3fb8aa3b
	v_max_f32_e32 v7, v7, v7
	v_max_f32_e32 v1, v1, v7
	v_xor_b32_e32 v7, 8, v4
	v_cmp_lt_i32_e32 vcc, v7, v5
	s_nop 1
	v_cndmask_b32_e32 v7, v4, v7, vcc
	v_lshlrev_b32_e32 v7, 2, v7
	ds_bpermute_b32 v8, v7, v1
	s_waitcnt lgkmcnt(0)
	v_max_f32_e32 v8, v8, v8
	v_max_f32_e32 v1, v1, v8
	v_xor_b32_e32 v8, 4, v4
	v_cmp_lt_i32_e32 vcc, v8, v5
	s_nop 1
	v_cndmask_b32_e32 v8, v4, v8, vcc
	v_lshlrev_b32_e32 v8, 2, v8
	ds_bpermute_b32 v9, v8, v1
	s_waitcnt lgkmcnt(0)
	v_max_f32_e32 v9, v9, v9
	v_max_f32_e32 v1, v1, v9
	v_xor_b32_e32 v9, 2, v4
	v_cmp_lt_i32_e32 vcc, v9, v5
	s_nop 1
	v_cndmask_b32_e32 v9, v4, v9, vcc
	v_lshlrev_b32_e32 v9, 2, v9
	ds_bpermute_b32 v10, v9, v1
	s_waitcnt lgkmcnt(0)
	v_max_f32_e32 v10, v10, v10
	v_max_f32_e32 v1, v1, v10
	v_xor_b32_e32 v10, 1, v4
	v_cmp_lt_i32_e32 vcc, v10, v5
	s_nop 1
	v_cndmask_b32_e32 v4, v4, v10, vcc
	v_lshlrev_b32_e32 v4, 2, v4
	ds_bpermute_b32 v5, v4, v1
	s_waitcnt lgkmcnt(0)
	v_max_f32_e32 v5, v5, v5
	v_max_f32_e32 v1, v1, v5
	v_sub_f32_e32 v1, v0, v1
	v_mul_f32_e32 v5, 0x3fb8aa3b, v1
	v_fma_f32 v10, v1, s4, -v5
	v_rndne_f32_e32 v12, v5
	v_fmamk_f32 v10, v1, 0x32a5705f, v10
	v_sub_f32_e32 v5, v5, v12
	v_add_f32_e32 v5, v5, v10
	v_exp_f32_e32 v5, v5
	v_cvt_i32_f32_e32 v10, v12
	s_mov_b32 s4, 0xc2ce8ed0
	v_cmp_ngt_f32_e32 vcc, s4, v1
	s_mov_b32 s4, 0x42b17218
	v_ldexp_f32 v5, v5, v10
	v_cndmask_b32_e32 v5, 0, v5, vcc
	v_mov_b32_e32 v10, 0x7f800000
	v_cmp_nlt_f32_e32 vcc, s4, v1
	s_nop 1
	v_cndmask_b32_e32 v1, v10, v5, vcc
	ds_bpermute_b32 v5, v6, v1
	s_waitcnt lgkmcnt(0)
	v_add_f32_e32 v5, v1, v5
	ds_bpermute_b32 v6, v7, v5
	s_waitcnt lgkmcnt(0)
	v_add_f32_e32 v5, v5, v6
	;; [unrolled: 3-line block ×5, first 2 shown]
	v_div_scale_f32 v5, s[4:5], v4, v4, 1.0
	v_rcp_f32_e32 v6, v5
	v_div_scale_f32 v7, vcc, 1.0, v4, 1.0
	v_fma_f32 v8, -v5, v6, 1.0
	v_fmac_f32_e32 v6, v8, v6
	v_mul_f32_e32 v8, v7, v6
	v_fma_f32 v9, -v5, v8, v7
	v_fmac_f32_e32 v8, v9, v6
	v_fma_f32 v5, -v5, v8, v7
	v_div_fmas_f32 v5, v5, v6, v8
	v_div_fixup_f32 v4, v5, v4, 1.0
	v_mul_f32_e32 v1, v1, v4
	s_cbranch_execz .LBB0_7
	s_branch .LBB0_8
.LBB0_6:
	s_waitcnt lgkmcnt(0)
                                        ; implicit-def: $vgpr1
.LBB0_7:
	v_mul_f32_e32 v1, 0xbfb8aa3b, v0
	s_mov_b32 s4, 0xbfb8aa3b
	v_rndne_f32_e32 v4, v1
	v_sub_f32_e32 v5, v1, v4
	v_fma_f32 v1, v0, s4, -v1
	v_fmamk_f32 v1, v0, 0xb2a5705f, v1
	v_add_f32_e32 v1, v5, v1
	v_exp_f32_e32 v1, v1
	v_cvt_i32_f32_e32 v4, v4
	s_mov_b32 s4, 0x42ce8ed0
	v_cmp_nlt_f32_e32 vcc, s4, v0
	s_mov_b32 s4, 0xc2b17218
	v_ldexp_f32 v1, v1, v4
	v_cndmask_b32_e32 v1, 0, v1, vcc
	v_mov_b32_e32 v4, 0x7f800000
	v_cmp_ngt_f32_e32 vcc, s4, v0
	s_nop 1
	v_cndmask_b32_e32 v0, v4, v1, vcc
	v_add_f32_e32 v0, 1.0, v0
	v_div_scale_f32 v1, s[4:5], v0, v0, 1.0
	v_rcp_f32_e32 v4, v1
	s_nop 0
	v_fma_f32 v5, -v1, v4, 1.0
	v_fmac_f32_e32 v4, v5, v4
	v_div_scale_f32 v5, vcc, 1.0, v0, 1.0
	v_mul_f32_e32 v6, v5, v4
	v_fma_f32 v7, -v1, v6, v5
	v_fmac_f32_e32 v6, v7, v4
	v_fma_f32 v1, -v1, v6, v5
	v_div_fmas_f32 v1, v1, v4, v6
	v_div_fixup_f32 v1, v1, v0, 1.0
.LBB0_8:
	v_mov_b32_e32 v0, v1
.LBB0_9:
	v_mov_b32_e32 v1, 0xff7fffff
	v_cmp_o_f32_e32 vcc, v0, v0
	s_nop 1
	v_cndmask_b32_e32 v0, v1, v0, vcc
	v_mov_b32_e32 v1, 0xff800000
	s_waitcnt lgkmcnt(0)
	s_and_saveexec_b64 s[4:5], s[2:3]
	s_cbranch_execz .LBB0_11
; %bb.10:
	s_load_dword s2, s[10:11], 0x0
	s_waitcnt lgkmcnt(0)
	v_add_f32_e32 v1, s2, v0
.LBB0_11:
	s_or_b64 exec, exec, s[4:5]
	s_lshr_b32 s4, s12, 8
	s_cmp_gt_i32 s13, 0
	s_cbranch_scc1 .LBB0_13
; %bb.12:
	s_bitcmp1_b32 s4, 0
	s_mov_b64 s[2:3], 0
	s_cselect_b64 s[10:11], -1, 0
	s_branch .LBB0_14
.LBB0_13:
	s_mov_b64 s[2:3], -1
                                        ; implicit-def: $sgpr10_sgpr11
.LBB0_14:
	v_mov_b32_e32 v14, 0
	s_andn2_b64 vcc, exec, s[2:3]
	v_mbcnt_lo_u32_b32 v13, -1, 0
	v_mov_b32_e32 v12, 0
	s_cbranch_vccnz .LBB0_33
; %bb.15:
	v_mov_b32_e32 v4, s8
	v_mov_b32_e32 v5, s9
	v_mbcnt_hi_u32_b32 v6, -1, v13
	v_lshl_add_u64 v[4:5], v[2:3], 2, v[4:5]
	v_and_b32_e32 v3, 0x60, v6
	v_add_u32_e32 v7, 32, v3
	v_xor_b32_e32 v3, 16, v6
	v_cmp_lt_i32_e32 vcc, v3, v7
	v_xor_b32_e32 v8, 8, v6
	s_bitcmp1_b32 s4, 0
	v_cndmask_b32_e32 v3, v6, v3, vcc
	v_cmp_lt_i32_e32 vcc, v8, v7
	s_mov_b32 s12, 0
	s_cselect_b64 s[10:11], -1, 0
	v_cndmask_b32_e32 v8, v6, v8, vcc
	v_lshlrev_b32_e32 v15, 2, v8
	v_xor_b32_e32 v8, 4, v6
	v_cmp_lt_i32_e32 vcc, v8, v7
	v_lshlrev_b32_e32 v3, 2, v3
	v_mov_b32_e32 v14, 0
	v_cndmask_b32_e32 v8, v6, v8, vcc
	v_lshlrev_b32_e32 v16, 2, v8
	v_xor_b32_e32 v8, 2, v6
	v_cmp_lt_i32_e32 vcc, v8, v7
	v_mov_b32_e32 v19, 0xff800000
	v_mov_b32_e32 v12, 0
	v_cndmask_b32_e32 v8, v6, v8, vcc
	v_lshlrev_b32_e32 v17, 2, v8
	v_xor_b32_e32 v8, 1, v6
	v_cmp_lt_i32_e32 vcc, v8, v7
	s_nop 1
	v_cndmask_b32_e32 v6, v6, v8, vcc
	v_lshlrev_b32_e32 v18, 2, v6
	s_branch .LBB0_17
.LBB0_16:                               ;   in Loop: Header=BB0_17 Depth=1
	s_or_b64 exec, exec, s[2:3]
	s_and_b32 s2, s12, 31
	v_cndmask_b32_e32 v1, v1, v19, vcc
	v_cmp_eq_u32_e32 vcc, s2, v11
	s_add_i32 s12, s12, 1
	s_cmp_eq_u32 s13, s12
	v_cndmask_b32_e32 v12, v12, v6, vcc
	v_lshl_add_u64 v[4:5], v[4:5], 0, 4
	s_cbranch_scc1 .LBB0_33
.LBB0_17:                               ; =>This Inner Loop Header: Depth=1
	ds_bpermute_b32 v9, v3, v1
	ds_bpermute_b32 v10, v3, v11
	;; [unrolled: 1-line block ×3, first 2 shown]
	v_mov_b32_e32 v20, v1
	v_mov_b32_e32 v22, v0
	s_waitcnt lgkmcnt(2)
	v_cmp_eq_f32_e64 s[2:3], v1, v9
	s_waitcnt lgkmcnt(1)
	v_cmp_lt_i32_e64 s[4:5], v10, v11
	v_cmp_lt_f32_e32 vcc, v1, v9
	s_and_b64 s[2:3], s[2:3], s[4:5]
	s_or_b64 s[4:5], vcc, s[2:3]
	v_mov_b32_e32 v21, v11
	v_mov_b64_e32 v[6:7], v[0:1]
	s_and_saveexec_b64 s[2:3], s[4:5]
	s_cbranch_execz .LBB0_19
; %bb.18:                               ;   in Loop: Header=BB0_17 Depth=1
	v_mov_b32_e32 v20, v9
	s_waitcnt lgkmcnt(0)
	v_mov_b32_e32 v22, v8
	v_mov_b32_e32 v21, v10
	v_mov_b64_e32 v[6:7], v[8:9]
.LBB0_19:                               ;   in Loop: Header=BB0_17 Depth=1
	s_or_b64 exec, exec, s[2:3]
	ds_bpermute_b32 v24, v15, v20
	ds_bpermute_b32 v10, v15, v22
	;; [unrolled: 1-line block ×3, first 2 shown]
	s_waitcnt lgkmcnt(2)
	v_cmp_lt_f32_e64 s[4:5], v7, v24
	v_cmp_nlt_f32_e32 vcc, v7, v24
	s_and_saveexec_b64 s[8:9], vcc
	s_cbranch_execz .LBB0_21
; %bb.20:                               ;   in Loop: Header=BB0_17 Depth=1
	v_cmp_eq_f32_e32 vcc, v7, v24
	s_waitcnt lgkmcnt(0)
	v_cmp_lt_i32_e64 s[2:3], v23, v21
	s_and_b64 s[2:3], vcc, s[2:3]
	s_andn2_b64 s[4:5], s[4:5], exec
	s_and_b64 s[2:3], s[2:3], exec
	s_or_b64 s[4:5], s[4:5], s[2:3]
.LBB0_21:                               ;   in Loop: Header=BB0_17 Depth=1
	s_or_b64 exec, exec, s[8:9]
	v_mov_b64_e32 v[8:9], v[6:7]
	s_and_saveexec_b64 s[2:3], s[4:5]
	s_cbranch_execz .LBB0_23
; %bb.22:                               ;   in Loop: Header=BB0_17 Depth=1
	v_mov_b32_e32 v7, v24
	v_mov_b32_e32 v20, v24
	s_waitcnt lgkmcnt(1)
	v_mov_b32_e32 v22, v10
	s_waitcnt lgkmcnt(0)
	v_mov_b32_e32 v21, v23
	v_mov_b64_e32 v[8:9], v[10:11]
.LBB0_23:                               ;   in Loop: Header=BB0_17 Depth=1
	s_or_b64 exec, exec, s[2:3]
	s_waitcnt lgkmcnt(1)
	ds_bpermute_b32 v10, v16, v20
	ds_bpermute_b32 v6, v16, v22
	;; [unrolled: 1-line block ×3, first 2 shown]
	s_waitcnt lgkmcnt(2)
	v_cmp_lt_f32_e64 s[4:5], v7, v10
	v_cmp_nlt_f32_e32 vcc, v7, v10
	s_and_saveexec_b64 s[8:9], vcc
	s_cbranch_execz .LBB0_25
; %bb.24:                               ;   in Loop: Header=BB0_17 Depth=1
	v_cmp_eq_f32_e32 vcc, v7, v10
	s_waitcnt lgkmcnt(0)
	v_cmp_lt_i32_e64 s[2:3], v9, v21
	s_and_b64 s[2:3], vcc, s[2:3]
	s_andn2_b64 s[4:5], s[4:5], exec
	s_and_b64 s[2:3], s[2:3], exec
	s_or_b64 s[4:5], s[4:5], s[2:3]
.LBB0_25:                               ;   in Loop: Header=BB0_17 Depth=1
	s_or_b64 exec, exec, s[8:9]
	s_and_saveexec_b64 s[2:3], s[4:5]
	s_cbranch_execz .LBB0_27
; %bb.26:                               ;   in Loop: Header=BB0_17 Depth=1
	v_mov_b32_e32 v7, v10
	v_mov_b32_e32 v20, v10
	s_waitcnt lgkmcnt(1)
	v_mov_b32_e32 v22, v6
	s_waitcnt lgkmcnt(0)
	v_mov_b32_e32 v21, v9
	v_mov_b64_e32 v[8:9], v[6:7]
.LBB0_27:                               ;   in Loop: Header=BB0_17 Depth=1
	s_or_b64 exec, exec, s[2:3]
	ds_bpermute_b32 v10, v17, v20
	s_waitcnt lgkmcnt(2)
	ds_bpermute_b32 v6, v17, v22
	s_waitcnt lgkmcnt(2)
	;; [unrolled: 2-line block ×3, first 2 shown]
	v_cmp_lt_f32_e64 s[4:5], v7, v10
	v_cmp_nlt_f32_e32 vcc, v7, v10
	s_and_saveexec_b64 s[8:9], vcc
	s_cbranch_execz .LBB0_29
; %bb.28:                               ;   in Loop: Header=BB0_17 Depth=1
	v_cmp_eq_f32_e32 vcc, v7, v10
	s_waitcnt lgkmcnt(0)
	v_cmp_lt_i32_e64 s[2:3], v9, v21
	s_and_b64 s[2:3], vcc, s[2:3]
	s_andn2_b64 s[4:5], s[4:5], exec
	s_and_b64 s[2:3], s[2:3], exec
	s_or_b64 s[4:5], s[4:5], s[2:3]
.LBB0_29:                               ;   in Loop: Header=BB0_17 Depth=1
	s_or_b64 exec, exec, s[8:9]
	s_and_saveexec_b64 s[2:3], s[4:5]
	s_cbranch_execz .LBB0_31
; %bb.30:                               ;   in Loop: Header=BB0_17 Depth=1
	v_mov_b32_e32 v7, v10
	v_mov_b32_e32 v20, v10
	s_waitcnt lgkmcnt(1)
	v_mov_b32_e32 v22, v6
	s_waitcnt lgkmcnt(0)
	v_mov_b32_e32 v21, v9
	v_mov_b64_e32 v[8:9], v[6:7]
.LBB0_31:                               ;   in Loop: Header=BB0_17 Depth=1
	s_or_b64 exec, exec, s[2:3]
	s_waitcnt lgkmcnt(1)
	ds_bpermute_b32 v6, v18, v20
	s_waitcnt lgkmcnt(1)
	ds_bpermute_b32 v9, v18, v21
	ds_bpermute_b32 v10, v18, v22
	s_waitcnt lgkmcnt(2)
	v_cmp_eq_f32_e64 s[2:3], v7, v6
	s_waitcnt lgkmcnt(1)
	v_cmp_lt_i32_e64 s[4:5], v9, v21
	v_cmp_lt_f32_e32 vcc, v7, v6
	s_and_b64 s[2:3], s[2:3], s[4:5]
	s_or_b64 vcc, vcc, s[2:3]
	v_cndmask_b32_e32 v7, v21, v9, vcc
	s_waitcnt lgkmcnt(0)
	v_cndmask_b32_e32 v6, v8, v10, vcc
	v_and_b32_e32 v8, 31, v7
	v_cmp_eq_u32_e32 vcc, v8, v11
	s_and_saveexec_b64 s[2:3], vcc
	s_cbranch_execz .LBB0_16
; %bb.32:                               ;   in Loop: Header=BB0_17 Depth=1
	v_add_f32_e32 v8, v14, v6
	v_cndmask_b32_e64 v14, v14, v8, s[10:11]
	global_store_dword v[4:5], v7, off
	s_branch .LBB0_16
.LBB0_33:
	s_and_b64 vcc, exec, s[10:11]
	s_cbranch_vccnz .LBB0_38
; %bb.34:
	s_andn2_b64 vcc, exec, s[0:1]
	v_cmp_gt_i32_e64 s[0:1], s13, v11
	s_cbranch_vccz .LBB0_39
.LBB0_35:
	v_cmp_gt_i32_e32 vcc, s13, v11
	s_and_b64 exec, exec, vcc
	s_cbranch_execz .LBB0_37
.LBB0_36:
	v_mul_lo_u32 v2, v2, s13
	v_mov_b32_e32 v0, s6
	v_mov_b32_e32 v1, s7
	s_waitcnt lgkmcnt(0)
	v_ashrrev_i32_e32 v3, 31, v2
	v_lshl_add_u64 v[0:1], v[2:3], 2, v[0:1]
	v_lshlrev_b32_e32 v2, 2, v11
	v_mov_b32_e32 v3, 0
	v_mul_f32_e32 v4, s15, v12
	v_lshl_add_u64 v[0:1], v[0:1], 0, v[2:3]
	global_store_dword v[0:1], v4, off
.LBB0_37:
	s_endpgm
.LBB0_38:
	v_mbcnt_hi_u32_b32 v0, -1, v13
	v_and_b32_e32 v1, 0x60, v0
	v_add_u32_e32 v1, 32, v1
	v_xor_b32_e32 v3, 16, v0
	v_cmp_lt_i32_e32 vcc, v3, v1
	v_xor_b32_e32 v4, 8, v0
	v_xor_b32_e32 v5, 4, v0
	v_cndmask_b32_e32 v3, v0, v3, vcc
	v_lshlrev_b32_e32 v3, 2, v3
	ds_bpermute_b32 v3, v3, v14
	v_cmp_lt_i32_e32 vcc, v4, v1
	s_waitcnt lgkmcnt(0)
	v_add_f32_e32 v3, v14, v3
	v_cndmask_b32_e32 v4, v0, v4, vcc
	v_lshlrev_b32_e32 v4, 2, v4
	ds_bpermute_b32 v4, v4, v3
	v_cmp_lt_i32_e32 vcc, v5, v1
	s_waitcnt lgkmcnt(0)
	v_add_f32_e32 v3, v3, v4
	v_cndmask_b32_e32 v4, v0, v5, vcc
	v_lshlrev_b32_e32 v4, 2, v4
	ds_bpermute_b32 v4, v4, v3
	v_xor_b32_e32 v5, 2, v0
	v_cmp_lt_i32_e32 vcc, v5, v1
	s_waitcnt lgkmcnt(0)
	v_add_f32_e32 v3, v3, v4
	v_cndmask_b32_e32 v4, v0, v5, vcc
	v_lshlrev_b32_e32 v4, 2, v4
	ds_bpermute_b32 v4, v4, v3
	v_xor_b32_e32 v5, 1, v0
	v_cmp_lt_i32_e32 vcc, v5, v1
	v_max_f32_e64 v1, s14, s14
	s_waitcnt lgkmcnt(0)
	v_add_f32_e32 v3, v3, v4
	v_cndmask_b32_e32 v0, v0, v5, vcc
	v_lshlrev_b32_e32 v0, 2, v0
	ds_bpermute_b32 v0, v0, v3
	s_waitcnt lgkmcnt(0)
	v_add_f32_e32 v0, v3, v0
	v_max_f32_e32 v0, v0, v1
	v_div_scale_f32 v1, s[2:3], v0, v0, 1.0
	v_rcp_f32_e32 v3, v1
	v_div_scale_f32 v4, vcc, 1.0, v0, 1.0
	v_fma_f32 v5, -v1, v3, 1.0
	v_fmac_f32_e32 v3, v5, v3
	v_mul_f32_e32 v5, v4, v3
	v_fma_f32 v6, -v1, v5, v4
	v_fmac_f32_e32 v5, v6, v3
	v_fma_f32 v1, -v1, v5, v4
	v_div_fmas_f32 v1, v1, v3, v5
	v_div_fixup_f32 v0, v1, v0, 1.0
	v_mul_f32_e32 v12, v0, v12
	s_andn2_b64 vcc, exec, s[0:1]
	v_cmp_gt_i32_e64 s[0:1], s13, v11
	s_cbranch_vccnz .LBB0_35
.LBB0_39:
	v_max_f32_e32 v0, v12, v12
	v_max_f32_e32 v0, 0xff800000, v0
	v_mov_b32_e32 v1, 0xff800000
	v_cndmask_b32_e64 v0, v1, v0, s[0:1]
	v_mbcnt_hi_u32_b32 v1, -1, v13
	v_and_b32_e32 v3, 0x60, v1
	v_add_u32_e32 v3, 32, v3
	v_xor_b32_e32 v4, 16, v1
	v_cmp_lt_i32_e32 vcc, v4, v3
	s_mov_b32 s2, 0x3fb8aa3b
	s_nop 0
	v_cndmask_b32_e32 v4, v1, v4, vcc
	v_lshlrev_b32_e32 v4, 2, v4
	ds_bpermute_b32 v5, v4, v0
	s_waitcnt lgkmcnt(0)
	v_max_f32_e32 v5, v5, v5
	v_max_f32_e32 v0, v0, v5
	v_xor_b32_e32 v5, 8, v1
	v_cmp_lt_i32_e32 vcc, v5, v3
	s_nop 1
	v_cndmask_b32_e32 v5, v1, v5, vcc
	v_lshlrev_b32_e32 v5, 2, v5
	ds_bpermute_b32 v6, v5, v0
	s_waitcnt lgkmcnt(0)
	v_max_f32_e32 v6, v6, v6
	v_max_f32_e32 v0, v0, v6
	v_xor_b32_e32 v6, 4, v1
	v_cmp_lt_i32_e32 vcc, v6, v3
	s_nop 1
	v_cndmask_b32_e32 v6, v1, v6, vcc
	v_lshlrev_b32_e32 v6, 2, v6
	ds_bpermute_b32 v7, v6, v0
	s_waitcnt lgkmcnt(0)
	v_max_f32_e32 v7, v7, v7
	v_max_f32_e32 v0, v0, v7
	v_xor_b32_e32 v7, 2, v1
	v_cmp_lt_i32_e32 vcc, v7, v3
	s_nop 1
	v_cndmask_b32_e32 v7, v1, v7, vcc
	v_lshlrev_b32_e32 v7, 2, v7
	ds_bpermute_b32 v8, v7, v0
	s_waitcnt lgkmcnt(0)
	v_max_f32_e32 v8, v8, v8
	v_max_f32_e32 v0, v0, v8
	v_xor_b32_e32 v8, 1, v1
	v_cmp_lt_i32_e32 vcc, v8, v3
	s_nop 1
	v_cndmask_b32_e32 v1, v1, v8, vcc
	v_lshlrev_b32_e32 v3, 2, v1
	ds_bpermute_b32 v1, v3, v0
	s_waitcnt lgkmcnt(0)
	v_max_f32_e32 v1, v1, v1
	v_max_f32_e32 v0, v0, v1
	v_sub_f32_e32 v0, v12, v0
	v_mul_f32_e32 v1, 0x3fb8aa3b, v0
	v_fma_f32 v8, v0, s2, -v1
	v_rndne_f32_e32 v9, v1
	v_fmamk_f32 v8, v0, 0x32a5705f, v8
	v_sub_f32_e32 v1, v1, v9
	v_add_f32_e32 v1, v1, v8
	v_exp_f32_e32 v1, v1
	v_cvt_i32_f32_e32 v8, v9
	s_mov_b32 s2, 0xc2ce8ed0
	v_cmp_ngt_f32_e32 vcc, s2, v0
	s_mov_b32 s2, 0x42b17218
	v_ldexp_f32 v1, v1, v8
	v_cndmask_b32_e32 v1, 0, v1, vcc
	v_mov_b32_e32 v8, 0x7f800000
	v_cmp_nlt_f32_e32 vcc, s2, v0
	v_mov_b32_e32 v12, 0
	s_nop 0
	v_cndmask_b32_e32 v0, v8, v1, vcc
	v_cndmask_b32_e64 v1, 0, v0, s[0:1]
	ds_bpermute_b32 v4, v4, v1
	s_waitcnt lgkmcnt(0)
	v_add_f32_e32 v1, v1, v4
	ds_bpermute_b32 v4, v5, v1
	s_waitcnt lgkmcnt(0)
	v_add_f32_e32 v1, v1, v4
	;; [unrolled: 3-line block ×4, first 2 shown]
	ds_bpermute_b32 v3, v3, v1
	s_and_saveexec_b64 s[2:3], s[0:1]
	s_cbranch_execz .LBB0_41
; %bb.40:
	s_waitcnt lgkmcnt(0)
	v_add_f32_e32 v1, v1, v3
	v_div_scale_f32 v3, s[0:1], v1, v1, 1.0
	v_rcp_f32_e32 v4, v3
	v_div_scale_f32 v5, vcc, 1.0, v1, 1.0
	v_fma_f32 v6, -v3, v4, 1.0
	v_fmac_f32_e32 v4, v6, v4
	v_mul_f32_e32 v6, v5, v4
	v_fma_f32 v7, -v3, v6, v5
	v_fmac_f32_e32 v6, v7, v4
	v_fma_f32 v3, -v3, v6, v5
	v_div_fmas_f32 v3, v3, v4, v6
	v_div_fixup_f32 v1, v3, v1, 1.0
	v_mul_f32_e32 v12, v0, v1
.LBB0_41:
	s_or_b64 exec, exec, s[2:3]
	v_cmp_gt_i32_e32 vcc, s13, v11
	s_and_b64 exec, exec, vcc
	s_cbranch_execnz .LBB0_36
	s_branch .LBB0_37
	.section	.rodata,"a",@progbits
	.p2align	6, 0x0
	.amdhsa_kernel _Z13topk_moe_cudaILi1ELb1EEvPKfPfPiS2_iiff15topk_moe_config
		.amdhsa_group_segment_fixed_size 0
		.amdhsa_private_segment_fixed_size 0
		.amdhsa_kernarg_size 312
		.amdhsa_user_sgpr_count 2
		.amdhsa_user_sgpr_dispatch_ptr 0
		.amdhsa_user_sgpr_queue_ptr 0
		.amdhsa_user_sgpr_kernarg_segment_ptr 1
		.amdhsa_user_sgpr_dispatch_id 0
		.amdhsa_user_sgpr_kernarg_preload_length 0
		.amdhsa_user_sgpr_kernarg_preload_offset 0
		.amdhsa_user_sgpr_private_segment_size 0
		.amdhsa_uses_dynamic_stack 0
		.amdhsa_enable_private_segment 0
		.amdhsa_system_sgpr_workgroup_id_x 1
		.amdhsa_system_sgpr_workgroup_id_y 0
		.amdhsa_system_sgpr_workgroup_id_z 0
		.amdhsa_system_sgpr_workgroup_info 0
		.amdhsa_system_vgpr_workitem_id 1
		.amdhsa_next_free_vgpr 25
		.amdhsa_next_free_sgpr 16
		.amdhsa_accum_offset 28
		.amdhsa_reserve_vcc 1
		.amdhsa_float_round_mode_32 0
		.amdhsa_float_round_mode_16_64 0
		.amdhsa_float_denorm_mode_32 3
		.amdhsa_float_denorm_mode_16_64 3
		.amdhsa_dx10_clamp 1
		.amdhsa_ieee_mode 1
		.amdhsa_fp16_overflow 0
		.amdhsa_tg_split 0
		.amdhsa_exception_fp_ieee_invalid_op 0
		.amdhsa_exception_fp_denorm_src 0
		.amdhsa_exception_fp_ieee_div_zero 0
		.amdhsa_exception_fp_ieee_overflow 0
		.amdhsa_exception_fp_ieee_underflow 0
		.amdhsa_exception_fp_ieee_inexact 0
		.amdhsa_exception_int_div_zero 0
	.end_amdhsa_kernel
	.section	.text._Z13topk_moe_cudaILi1ELb1EEvPKfPfPiS2_iiff15topk_moe_config,"axG",@progbits,_Z13topk_moe_cudaILi1ELb1EEvPKfPfPiS2_iiff15topk_moe_config,comdat
.Lfunc_end0:
	.size	_Z13topk_moe_cudaILi1ELb1EEvPKfPfPiS2_iiff15topk_moe_config, .Lfunc_end0-_Z13topk_moe_cudaILi1ELb1EEvPKfPfPiS2_iiff15topk_moe_config
                                        ; -- End function
	.set _Z13topk_moe_cudaILi1ELb1EEvPKfPfPiS2_iiff15topk_moe_config.num_vgpr, 25
	.set _Z13topk_moe_cudaILi1ELb1EEvPKfPfPiS2_iiff15topk_moe_config.num_agpr, 0
	.set _Z13topk_moe_cudaILi1ELb1EEvPKfPfPiS2_iiff15topk_moe_config.numbered_sgpr, 16
	.set _Z13topk_moe_cudaILi1ELb1EEvPKfPfPiS2_iiff15topk_moe_config.num_named_barrier, 0
	.set _Z13topk_moe_cudaILi1ELb1EEvPKfPfPiS2_iiff15topk_moe_config.private_seg_size, 0
	.set _Z13topk_moe_cudaILi1ELb1EEvPKfPfPiS2_iiff15topk_moe_config.uses_vcc, 1
	.set _Z13topk_moe_cudaILi1ELb1EEvPKfPfPiS2_iiff15topk_moe_config.uses_flat_scratch, 0
	.set _Z13topk_moe_cudaILi1ELb1EEvPKfPfPiS2_iiff15topk_moe_config.has_dyn_sized_stack, 0
	.set _Z13topk_moe_cudaILi1ELb1EEvPKfPfPiS2_iiff15topk_moe_config.has_recursion, 0
	.set _Z13topk_moe_cudaILi1ELb1EEvPKfPfPiS2_iiff15topk_moe_config.has_indirect_call, 0
	.section	.AMDGPU.csdata,"",@progbits
; Kernel info:
; codeLenInByte = 2752
; TotalNumSgprs: 22
; NumVgprs: 25
; NumAgprs: 0
; TotalNumVgprs: 25
; ScratchSize: 0
; MemoryBound: 0
; FloatMode: 240
; IeeeMode: 1
; LDSByteSize: 0 bytes/workgroup (compile time only)
; SGPRBlocks: 2
; VGPRBlocks: 3
; NumSGPRsForWavesPerEU: 22
; NumVGPRsForWavesPerEU: 25
; AccumOffset: 28
; Occupancy: 8
; WaveLimiterHint : 0
; COMPUTE_PGM_RSRC2:SCRATCH_EN: 0
; COMPUTE_PGM_RSRC2:USER_SGPR: 2
; COMPUTE_PGM_RSRC2:TRAP_HANDLER: 0
; COMPUTE_PGM_RSRC2:TGID_X_EN: 1
; COMPUTE_PGM_RSRC2:TGID_Y_EN: 0
; COMPUTE_PGM_RSRC2:TGID_Z_EN: 0
; COMPUTE_PGM_RSRC2:TIDIG_COMP_CNT: 1
; COMPUTE_PGM_RSRC3_GFX90A:ACCUM_OFFSET: 6
; COMPUTE_PGM_RSRC3_GFX90A:TG_SPLIT: 0
	.section	.text._Z13topk_moe_cudaILi2ELb1EEvPKfPfPiS2_iiff15topk_moe_config,"axG",@progbits,_Z13topk_moe_cudaILi2ELb1EEvPKfPfPiS2_iiff15topk_moe_config,comdat
	.protected	_Z13topk_moe_cudaILi2ELb1EEvPKfPfPiS2_iiff15topk_moe_config ; -- Begin function _Z13topk_moe_cudaILi2ELb1EEvPKfPfPiS2_iiff15topk_moe_config
	.globl	_Z13topk_moe_cudaILi2ELb1EEvPKfPfPiS2_iiff15topk_moe_config
	.p2align	8
	.type	_Z13topk_moe_cudaILi2ELb1EEvPKfPfPiS2_iiff15topk_moe_config,@function
_Z13topk_moe_cudaILi2ELb1EEvPKfPfPiS2_iiff15topk_moe_config: ; @_Z13topk_moe_cudaILi2ELb1EEvPKfPfPiS2_iiff15topk_moe_config
; %bb.0:
	s_load_dword s3, s[0:1], 0x44
	s_load_dwordx4 s[12:15], s[0:1], 0x20
	v_bfe_u32 v1, v0, 10, 10
	s_waitcnt lgkmcnt(0)
	s_lshr_b32 s3, s3, 16
	s_mul_i32 s2, s2, s3
	v_add_u32_e32 v11, s2, v1
	v_cmp_gt_i32_e32 vcc, s12, v11
	s_and_saveexec_b64 s[2:3], vcc
	s_cbranch_execz .LBB1_37
; %bb.1:
	v_mov_b32_e32 v1, 0
	global_load_ushort v3, v1, s[0:1] offset:48
	global_load_sbyte v6, v1, s[0:1] offset:50
	s_load_dwordx8 s[4:11], s[0:1], 0x0
	v_lshlrev_b32_e32 v4, 1, v11
	v_and_b32_e32 v12, 0x3ff, v0
	v_mov_b32_e32 v2, 0xff800000
	v_ashrrev_i32_e32 v5, 31, v4
	v_cmp_gt_u32_e64 s[2:3], 2, v12
	v_lshlrev_b32_e32 v0, 2, v12
	s_waitcnt vmcnt(1)
	v_readfirstlane_b32 s12, v3
	s_and_saveexec_b64 s[0:1], s[2:3]
	s_cbranch_execz .LBB1_3
; %bb.2:
	s_waitcnt lgkmcnt(0)
	v_mov_b32_e32 v8, s4
	v_mov_b32_e32 v9, s5
	v_lshl_add_u64 v[8:9], v[4:5], 2, v[8:9]
	v_lshl_add_u64 v[8:9], v[8:9], 0, v[0:1]
	global_load_dword v2, v[8:9], off
.LBB1_3:
	s_or_b64 exec, exec, s[0:1]
	s_waitcnt vmcnt(0)
	v_and_b32_e32 v1, 1, v6
	v_cmp_eq_u32_e64 s[0:1], 1, v1
	s_and_b64 vcc, exec, s[0:1]
	s_cbranch_vccnz .LBB1_9
; %bb.4:
	v_and_b32_e32 v1, 1, v3
	v_cmp_eq_u32_e32 vcc, 0, v1
	s_cbranch_vccz .LBB1_6
; %bb.5:
	v_mbcnt_lo_u32_b32 v3, -1, 0
	v_mbcnt_hi_u32_b32 v3, -1, v3
	v_and_b32_e32 v6, 0x60, v3
	v_add_u32_e32 v6, 32, v6
	v_xor_b32_e32 v7, 16, v3
	v_cmp_lt_i32_e32 vcc, v7, v6
	v_max_f32_e32 v1, v2, v2
	v_max_f32_e32 v1, 0xff800000, v1
	v_cndmask_b32_e32 v7, v3, v7, vcc
	v_lshlrev_b32_e32 v7, 2, v7
	ds_bpermute_b32 v8, v7, v1
	s_waitcnt lgkmcnt(0)
	s_mov_b32 s4, 0x3fb8aa3b
	v_max_f32_e32 v8, v8, v8
	v_max_f32_e32 v1, v1, v8
	v_xor_b32_e32 v8, 8, v3
	v_cmp_lt_i32_e32 vcc, v8, v6
	s_nop 1
	v_cndmask_b32_e32 v8, v3, v8, vcc
	v_lshlrev_b32_e32 v8, 2, v8
	ds_bpermute_b32 v9, v8, v1
	s_waitcnt lgkmcnt(0)
	v_max_f32_e32 v9, v9, v9
	v_max_f32_e32 v1, v1, v9
	v_xor_b32_e32 v9, 4, v3
	v_cmp_lt_i32_e32 vcc, v9, v6
	s_nop 1
	v_cndmask_b32_e32 v9, v3, v9, vcc
	v_lshlrev_b32_e32 v9, 2, v9
	ds_bpermute_b32 v10, v9, v1
	s_waitcnt lgkmcnt(0)
	;; [unrolled: 9-line block ×4, first 2 shown]
	v_max_f32_e32 v6, v6, v6
	v_max_f32_e32 v1, v1, v6
	v_sub_f32_e32 v1, v2, v1
	v_mul_f32_e32 v6, 0x3fb8aa3b, v1
	v_fma_f32 v13, v1, s4, -v6
	v_rndne_f32_e32 v14, v6
	v_fmamk_f32 v13, v1, 0x32a5705f, v13
	v_sub_f32_e32 v6, v6, v14
	v_add_f32_e32 v6, v6, v13
	v_exp_f32_e32 v6, v6
	v_cvt_i32_f32_e32 v13, v14
	s_mov_b32 s4, 0xc2ce8ed0
	v_cmp_ngt_f32_e32 vcc, s4, v1
	s_mov_b32 s4, 0x42b17218
	v_ldexp_f32 v6, v6, v13
	v_cndmask_b32_e32 v6, 0, v6, vcc
	v_mov_b32_e32 v13, 0x7f800000
	v_cmp_nlt_f32_e32 vcc, s4, v1
	s_nop 1
	v_cndmask_b32_e32 v1, v13, v6, vcc
	ds_bpermute_b32 v6, v7, v1
	s_waitcnt lgkmcnt(0)
	v_add_f32_e32 v6, v1, v6
	ds_bpermute_b32 v7, v8, v6
	s_waitcnt lgkmcnt(0)
	v_add_f32_e32 v6, v6, v7
	;; [unrolled: 3-line block ×5, first 2 shown]
	v_div_scale_f32 v6, s[4:5], v3, v3, 1.0
	v_rcp_f32_e32 v7, v6
	v_div_scale_f32 v8, vcc, 1.0, v3, 1.0
	v_fma_f32 v9, -v6, v7, 1.0
	v_fmac_f32_e32 v7, v9, v7
	v_mul_f32_e32 v9, v8, v7
	v_fma_f32 v10, -v6, v9, v8
	v_fmac_f32_e32 v9, v10, v7
	v_fma_f32 v6, -v6, v9, v8
	v_div_fmas_f32 v6, v6, v7, v9
	v_div_fixup_f32 v3, v6, v3, 1.0
	v_mul_f32_e32 v1, v1, v3
	s_cbranch_execz .LBB1_7
	s_branch .LBB1_8
.LBB1_6:
	s_waitcnt lgkmcnt(0)
                                        ; implicit-def: $vgpr1
.LBB1_7:
	v_mul_f32_e32 v1, 0xbfb8aa3b, v2
	s_mov_b32 s4, 0xbfb8aa3b
	v_rndne_f32_e32 v3, v1
	v_sub_f32_e32 v6, v1, v3
	v_fma_f32 v1, v2, s4, -v1
	v_fmamk_f32 v1, v2, 0xb2a5705f, v1
	v_add_f32_e32 v1, v6, v1
	v_exp_f32_e32 v1, v1
	v_cvt_i32_f32_e32 v3, v3
	s_mov_b32 s4, 0x42ce8ed0
	v_cmp_nlt_f32_e32 vcc, s4, v2
	s_mov_b32 s4, 0xc2b17218
	v_ldexp_f32 v1, v1, v3
	v_cndmask_b32_e32 v1, 0, v1, vcc
	v_mov_b32_e32 v3, 0x7f800000
	v_cmp_ngt_f32_e32 vcc, s4, v2
	s_nop 1
	v_cndmask_b32_e32 v1, v3, v1, vcc
	v_add_f32_e32 v1, 1.0, v1
	v_div_scale_f32 v2, s[4:5], v1, v1, 1.0
	v_rcp_f32_e32 v3, v2
	s_nop 0
	v_fma_f32 v6, -v2, v3, 1.0
	v_fmac_f32_e32 v3, v6, v3
	v_div_scale_f32 v6, vcc, 1.0, v1, 1.0
	v_mul_f32_e32 v7, v6, v3
	v_fma_f32 v8, -v2, v7, v6
	v_fmac_f32_e32 v7, v8, v3
	v_fma_f32 v2, -v2, v7, v6
	v_div_fmas_f32 v2, v2, v3, v7
	v_div_fixup_f32 v1, v2, v1, 1.0
.LBB1_8:
	v_mov_b32_e32 v2, v1
.LBB1_9:
	v_mov_b32_e32 v1, 0xff7fffff
	v_cmp_o_f32_e32 vcc, v2, v2
	v_mov_b32_e32 v3, 0xff800000
	s_nop 0
	v_cndmask_b32_e32 v2, v1, v2, vcc
	s_waitcnt lgkmcnt(0)
	s_and_saveexec_b64 s[4:5], s[2:3]
	s_cbranch_execz .LBB1_11
; %bb.10:
	global_load_dword v1, v0, s[10:11]
	s_waitcnt vmcnt(0)
	v_add_f32_e32 v3, v2, v1
.LBB1_11:
	s_or_b64 exec, exec, s[4:5]
	s_lshr_b32 s4, s12, 8
	s_cmp_gt_i32 s13, 0
	s_cbranch_scc1 .LBB1_13
; %bb.12:
	s_bitcmp1_b32 s4, 0
	s_mov_b64 s[2:3], 0
	s_cselect_b64 s[10:11], -1, 0
	s_branch .LBB1_14
.LBB1_13:
	s_mov_b64 s[2:3], -1
                                        ; implicit-def: $sgpr10_sgpr11
.LBB1_14:
	v_mov_b32_e32 v14, 0
	s_andn2_b64 vcc, exec, s[2:3]
	v_mbcnt_lo_u32_b32 v13, -1, 0
	v_mov_b32_e32 v1, 0
	s_cbranch_vccnz .LBB1_33
; %bb.15:
	v_mov_b32_e32 v6, s8
	v_mov_b32_e32 v7, s9
	v_mbcnt_hi_u32_b32 v1, -1, v13
	v_lshl_add_u64 v[4:5], v[4:5], 2, v[6:7]
	v_and_b32_e32 v6, 0x60, v1
	v_add_u32_e32 v6, 32, v6
	v_xor_b32_e32 v7, 16, v1
	v_cmp_lt_i32_e32 vcc, v7, v6
	s_bitcmp1_b32 s4, 0
	s_mov_b32 s12, 0
	v_cndmask_b32_e32 v7, v1, v7, vcc
	v_lshlrev_b32_e32 v15, 2, v7
	v_xor_b32_e32 v7, 8, v1
	v_cmp_lt_i32_e32 vcc, v7, v6
	s_cselect_b64 s[10:11], -1, 0
	v_mov_b32_e32 v14, 0
	v_cndmask_b32_e32 v7, v1, v7, vcc
	v_lshlrev_b32_e32 v16, 2, v7
	v_xor_b32_e32 v7, 4, v1
	v_cmp_lt_i32_e32 vcc, v7, v6
	v_mov_b32_e32 v20, 0xff800000
	s_nop 0
	v_cndmask_b32_e32 v7, v1, v7, vcc
	v_lshlrev_b32_e32 v17, 2, v7
	v_xor_b32_e32 v7, 2, v1
	v_cmp_lt_i32_e32 vcc, v7, v6
	s_nop 1
	v_cndmask_b32_e32 v7, v1, v7, vcc
	v_lshlrev_b32_e32 v18, 2, v7
	v_xor_b32_e32 v7, 1, v1
	v_cmp_lt_i32_e32 vcc, v7, v6
	s_nop 1
	v_cndmask_b32_e32 v1, v1, v7, vcc
	v_lshlrev_b32_e32 v19, 2, v1
	v_mov_b32_e32 v1, 0
	s_branch .LBB1_17
.LBB1_16:                               ;   in Loop: Header=BB1_17 Depth=1
	s_or_b64 exec, exec, s[2:3]
	s_and_b32 s2, s12, 31
	v_cndmask_b32_e32 v3, v3, v20, vcc
	v_cmp_eq_u32_e32 vcc, s2, v12
	s_add_i32 s12, s12, 1
	s_cmp_eq_u32 s13, s12
	v_cndmask_b32_e32 v1, v1, v6, vcc
	v_lshl_add_u64 v[4:5], v[4:5], 0, 4
	s_cbranch_scc1 .LBB1_33
.LBB1_17:                               ; =>This Inner Loop Header: Depth=1
	ds_bpermute_b32 v9, v15, v3
	ds_bpermute_b32 v10, v15, v12
	;; [unrolled: 1-line block ×3, first 2 shown]
	v_mov_b32_e32 v21, v3
	v_mov_b32_e32 v23, v2
	s_waitcnt lgkmcnt(2)
	v_cmp_eq_f32_e64 s[2:3], v3, v9
	s_waitcnt lgkmcnt(1)
	v_cmp_lt_i32_e64 s[4:5], v10, v12
	v_cmp_lt_f32_e32 vcc, v3, v9
	s_and_b64 s[2:3], s[2:3], s[4:5]
	s_or_b64 s[4:5], vcc, s[2:3]
	v_mov_b32_e32 v22, v12
	v_mov_b64_e32 v[6:7], v[2:3]
	s_and_saveexec_b64 s[2:3], s[4:5]
	s_cbranch_execz .LBB1_19
; %bb.18:                               ;   in Loop: Header=BB1_17 Depth=1
	v_mov_b32_e32 v21, v9
	s_waitcnt lgkmcnt(0)
	v_mov_b32_e32 v23, v8
	v_mov_b32_e32 v22, v10
	v_mov_b64_e32 v[6:7], v[8:9]
.LBB1_19:                               ;   in Loop: Header=BB1_17 Depth=1
	s_or_b64 exec, exec, s[2:3]
	ds_bpermute_b32 v25, v16, v21
	ds_bpermute_b32 v10, v16, v23
	;; [unrolled: 1-line block ×3, first 2 shown]
	s_waitcnt lgkmcnt(2)
	v_cmp_lt_f32_e64 s[4:5], v7, v25
	v_cmp_nlt_f32_e32 vcc, v7, v25
	s_and_saveexec_b64 s[8:9], vcc
	s_cbranch_execz .LBB1_21
; %bb.20:                               ;   in Loop: Header=BB1_17 Depth=1
	v_cmp_eq_f32_e32 vcc, v7, v25
	s_waitcnt lgkmcnt(0)
	v_cmp_lt_i32_e64 s[2:3], v24, v22
	s_and_b64 s[2:3], vcc, s[2:3]
	s_andn2_b64 s[4:5], s[4:5], exec
	s_and_b64 s[2:3], s[2:3], exec
	s_or_b64 s[4:5], s[4:5], s[2:3]
.LBB1_21:                               ;   in Loop: Header=BB1_17 Depth=1
	s_or_b64 exec, exec, s[8:9]
	v_mov_b64_e32 v[8:9], v[6:7]
	s_and_saveexec_b64 s[2:3], s[4:5]
	s_cbranch_execz .LBB1_23
; %bb.22:                               ;   in Loop: Header=BB1_17 Depth=1
	v_mov_b32_e32 v7, v25
	v_mov_b32_e32 v21, v25
	s_waitcnt lgkmcnt(1)
	v_mov_b32_e32 v23, v10
	s_waitcnt lgkmcnt(0)
	v_mov_b32_e32 v22, v24
	v_mov_b64_e32 v[8:9], v[10:11]
.LBB1_23:                               ;   in Loop: Header=BB1_17 Depth=1
	s_or_b64 exec, exec, s[2:3]
	s_waitcnt lgkmcnt(1)
	ds_bpermute_b32 v10, v17, v21
	ds_bpermute_b32 v6, v17, v23
	ds_bpermute_b32 v9, v17, v22
	s_waitcnt lgkmcnt(2)
	v_cmp_lt_f32_e64 s[4:5], v7, v10
	v_cmp_nlt_f32_e32 vcc, v7, v10
	s_and_saveexec_b64 s[8:9], vcc
	s_cbranch_execz .LBB1_25
; %bb.24:                               ;   in Loop: Header=BB1_17 Depth=1
	v_cmp_eq_f32_e32 vcc, v7, v10
	s_waitcnt lgkmcnt(0)
	v_cmp_lt_i32_e64 s[2:3], v9, v22
	s_and_b64 s[2:3], vcc, s[2:3]
	s_andn2_b64 s[4:5], s[4:5], exec
	s_and_b64 s[2:3], s[2:3], exec
	s_or_b64 s[4:5], s[4:5], s[2:3]
.LBB1_25:                               ;   in Loop: Header=BB1_17 Depth=1
	s_or_b64 exec, exec, s[8:9]
	s_and_saveexec_b64 s[2:3], s[4:5]
	s_cbranch_execz .LBB1_27
; %bb.26:                               ;   in Loop: Header=BB1_17 Depth=1
	v_mov_b32_e32 v7, v10
	v_mov_b32_e32 v21, v10
	s_waitcnt lgkmcnt(1)
	v_mov_b32_e32 v23, v6
	s_waitcnt lgkmcnt(0)
	v_mov_b32_e32 v22, v9
	v_mov_b64_e32 v[8:9], v[6:7]
.LBB1_27:                               ;   in Loop: Header=BB1_17 Depth=1
	s_or_b64 exec, exec, s[2:3]
	ds_bpermute_b32 v10, v18, v21
	s_waitcnt lgkmcnt(2)
	ds_bpermute_b32 v6, v18, v23
	s_waitcnt lgkmcnt(2)
	;; [unrolled: 2-line block ×3, first 2 shown]
	v_cmp_lt_f32_e64 s[4:5], v7, v10
	v_cmp_nlt_f32_e32 vcc, v7, v10
	s_and_saveexec_b64 s[8:9], vcc
	s_cbranch_execz .LBB1_29
; %bb.28:                               ;   in Loop: Header=BB1_17 Depth=1
	v_cmp_eq_f32_e32 vcc, v7, v10
	s_waitcnt lgkmcnt(0)
	v_cmp_lt_i32_e64 s[2:3], v9, v22
	s_and_b64 s[2:3], vcc, s[2:3]
	s_andn2_b64 s[4:5], s[4:5], exec
	s_and_b64 s[2:3], s[2:3], exec
	s_or_b64 s[4:5], s[4:5], s[2:3]
.LBB1_29:                               ;   in Loop: Header=BB1_17 Depth=1
	s_or_b64 exec, exec, s[8:9]
	s_and_saveexec_b64 s[2:3], s[4:5]
	s_cbranch_execz .LBB1_31
; %bb.30:                               ;   in Loop: Header=BB1_17 Depth=1
	v_mov_b32_e32 v7, v10
	v_mov_b32_e32 v21, v10
	s_waitcnt lgkmcnt(1)
	v_mov_b32_e32 v23, v6
	s_waitcnt lgkmcnt(0)
	v_mov_b32_e32 v22, v9
	v_mov_b64_e32 v[8:9], v[6:7]
.LBB1_31:                               ;   in Loop: Header=BB1_17 Depth=1
	s_or_b64 exec, exec, s[2:3]
	s_waitcnt lgkmcnt(1)
	ds_bpermute_b32 v6, v19, v21
	s_waitcnt lgkmcnt(1)
	ds_bpermute_b32 v9, v19, v22
	ds_bpermute_b32 v10, v19, v23
	s_waitcnt lgkmcnt(2)
	v_cmp_eq_f32_e64 s[2:3], v7, v6
	s_waitcnt lgkmcnt(1)
	v_cmp_lt_i32_e64 s[4:5], v9, v22
	v_cmp_lt_f32_e32 vcc, v7, v6
	s_and_b64 s[2:3], s[2:3], s[4:5]
	s_or_b64 vcc, vcc, s[2:3]
	v_cndmask_b32_e32 v7, v22, v9, vcc
	s_waitcnt lgkmcnt(0)
	v_cndmask_b32_e32 v6, v8, v10, vcc
	v_and_b32_e32 v8, 31, v7
	v_cmp_eq_u32_e32 vcc, v8, v12
	s_and_saveexec_b64 s[2:3], vcc
	s_cbranch_execz .LBB1_16
; %bb.32:                               ;   in Loop: Header=BB1_17 Depth=1
	v_add_f32_e32 v8, v14, v6
	v_cndmask_b32_e64 v14, v14, v8, s[10:11]
	global_store_dword v[4:5], v7, off
	s_branch .LBB1_16
.LBB1_33:
	s_and_b64 vcc, exec, s[10:11]
	s_cbranch_vccnz .LBB1_38
; %bb.34:
	s_andn2_b64 vcc, exec, s[0:1]
	v_cmp_gt_i32_e64 s[0:1], s13, v12
	s_cbranch_vccz .LBB1_39
.LBB1_35:
	v_cmp_gt_i32_e32 vcc, s13, v12
	s_and_b64 exec, exec, vcc
	s_cbranch_execz .LBB1_37
.LBB1_36:
	s_waitcnt lgkmcnt(0)
	v_mul_lo_u32 v4, v11, s13
	v_mov_b32_e32 v2, s6
	v_mov_b32_e32 v3, s7
	v_ashrrev_i32_e32 v5, 31, v4
	v_lshl_add_u64 v[2:3], v[4:5], 2, v[2:3]
	v_mul_f32_e32 v4, s15, v1
	v_mov_b32_e32 v1, 0
	v_lshl_add_u64 v[0:1], v[2:3], 0, v[0:1]
	global_store_dword v[0:1], v4, off
.LBB1_37:
	s_endpgm
.LBB1_38:
	v_mbcnt_hi_u32_b32 v2, -1, v13
	v_and_b32_e32 v3, 0x60, v2
	v_add_u32_e32 v3, 32, v3
	v_xor_b32_e32 v4, 16, v2
	v_cmp_lt_i32_e32 vcc, v4, v3
	v_xor_b32_e32 v5, 8, v2
	v_xor_b32_e32 v6, 4, v2
	v_cndmask_b32_e32 v4, v2, v4, vcc
	v_lshlrev_b32_e32 v4, 2, v4
	ds_bpermute_b32 v4, v4, v14
	v_cmp_lt_i32_e32 vcc, v5, v3
	s_waitcnt lgkmcnt(0)
	v_add_f32_e32 v4, v14, v4
	v_cndmask_b32_e32 v5, v2, v5, vcc
	v_lshlrev_b32_e32 v5, 2, v5
	ds_bpermute_b32 v5, v5, v4
	v_cmp_lt_i32_e32 vcc, v6, v3
	s_waitcnt lgkmcnt(0)
	v_add_f32_e32 v4, v4, v5
	v_cndmask_b32_e32 v5, v2, v6, vcc
	v_lshlrev_b32_e32 v5, 2, v5
	ds_bpermute_b32 v5, v5, v4
	v_xor_b32_e32 v6, 2, v2
	v_cmp_lt_i32_e32 vcc, v6, v3
	s_waitcnt lgkmcnt(0)
	v_add_f32_e32 v4, v4, v5
	v_cndmask_b32_e32 v5, v2, v6, vcc
	v_lshlrev_b32_e32 v5, 2, v5
	ds_bpermute_b32 v5, v5, v4
	v_xor_b32_e32 v6, 1, v2
	v_cmp_lt_i32_e32 vcc, v6, v3
	v_max_f32_e64 v3, s14, s14
	s_waitcnt lgkmcnt(0)
	v_add_f32_e32 v4, v4, v5
	v_cndmask_b32_e32 v2, v2, v6, vcc
	v_lshlrev_b32_e32 v2, 2, v2
	ds_bpermute_b32 v2, v2, v4
	s_waitcnt lgkmcnt(0)
	v_add_f32_e32 v2, v4, v2
	v_max_f32_e32 v2, v2, v3
	v_div_scale_f32 v3, s[2:3], v2, v2, 1.0
	v_rcp_f32_e32 v4, v3
	v_div_scale_f32 v5, vcc, 1.0, v2, 1.0
	v_fma_f32 v6, -v3, v4, 1.0
	v_fmac_f32_e32 v4, v6, v4
	v_mul_f32_e32 v6, v5, v4
	v_fma_f32 v7, -v3, v6, v5
	v_fmac_f32_e32 v6, v7, v4
	v_fma_f32 v3, -v3, v6, v5
	v_div_fmas_f32 v3, v3, v4, v6
	v_div_fixup_f32 v2, v3, v2, 1.0
	v_mul_f32_e32 v1, v2, v1
	s_andn2_b64 vcc, exec, s[0:1]
	v_cmp_gt_i32_e64 s[0:1], s13, v12
	s_cbranch_vccnz .LBB1_35
.LBB1_39:
	v_max_f32_e32 v2, v1, v1
	v_max_f32_e32 v2, 0xff800000, v2
	v_mov_b32_e32 v3, 0xff800000
	v_cndmask_b32_e64 v2, v3, v2, s[0:1]
	v_mbcnt_hi_u32_b32 v3, -1, v13
	v_and_b32_e32 v4, 0x60, v3
	v_add_u32_e32 v4, 32, v4
	v_xor_b32_e32 v5, 16, v3
	v_cmp_lt_i32_e32 vcc, v5, v4
	s_mov_b32 s2, 0x3fb8aa3b
	s_nop 0
	v_cndmask_b32_e32 v5, v3, v5, vcc
	v_lshlrev_b32_e32 v5, 2, v5
	ds_bpermute_b32 v6, v5, v2
	s_waitcnt lgkmcnt(0)
	v_max_f32_e32 v6, v6, v6
	v_max_f32_e32 v2, v2, v6
	v_xor_b32_e32 v6, 8, v3
	v_cmp_lt_i32_e32 vcc, v6, v4
	s_nop 1
	v_cndmask_b32_e32 v6, v3, v6, vcc
	v_lshlrev_b32_e32 v6, 2, v6
	ds_bpermute_b32 v7, v6, v2
	s_waitcnt lgkmcnt(0)
	v_max_f32_e32 v7, v7, v7
	v_max_f32_e32 v2, v2, v7
	v_xor_b32_e32 v7, 4, v3
	v_cmp_lt_i32_e32 vcc, v7, v4
	;; [unrolled: 9-line block ×4, first 2 shown]
	s_nop 1
	v_cndmask_b32_e32 v3, v3, v9, vcc
	v_lshlrev_b32_e32 v4, 2, v3
	ds_bpermute_b32 v3, v4, v2
	s_waitcnt lgkmcnt(0)
	v_max_f32_e32 v3, v3, v3
	v_max_f32_e32 v2, v2, v3
	v_sub_f32_e32 v1, v1, v2
	v_mul_f32_e32 v2, 0x3fb8aa3b, v1
	v_fma_f32 v3, v1, s2, -v2
	v_rndne_f32_e32 v9, v2
	v_fmamk_f32 v3, v1, 0x32a5705f, v3
	v_sub_f32_e32 v2, v2, v9
	v_add_f32_e32 v2, v2, v3
	v_exp_f32_e32 v2, v2
	v_cvt_i32_f32_e32 v3, v9
	s_mov_b32 s2, 0xc2ce8ed0
	v_cmp_ngt_f32_e32 vcc, s2, v1
	s_mov_b32 s2, 0x42b17218
	v_ldexp_f32 v2, v2, v3
	v_cndmask_b32_e32 v2, 0, v2, vcc
	v_mov_b32_e32 v3, 0x7f800000
	v_cmp_nlt_f32_e32 vcc, s2, v1
	s_nop 1
	v_cndmask_b32_e32 v2, v3, v2, vcc
	v_cndmask_b32_e64 v1, 0, v2, s[0:1]
	ds_bpermute_b32 v3, v5, v1
	s_waitcnt lgkmcnt(0)
	v_add_f32_e32 v1, v1, v3
	ds_bpermute_b32 v3, v6, v1
	s_waitcnt lgkmcnt(0)
	v_add_f32_e32 v1, v1, v3
	;; [unrolled: 3-line block ×4, first 2 shown]
	ds_bpermute_b32 v4, v4, v3
	v_mov_b32_e32 v1, 0
	s_and_saveexec_b64 s[2:3], s[0:1]
	s_cbranch_execz .LBB1_41
; %bb.40:
	s_waitcnt lgkmcnt(0)
	v_add_f32_e32 v1, v3, v4
	v_div_scale_f32 v3, s[0:1], v1, v1, 1.0
	v_rcp_f32_e32 v4, v3
	v_div_scale_f32 v5, vcc, 1.0, v1, 1.0
	v_fma_f32 v6, -v3, v4, 1.0
	v_fmac_f32_e32 v4, v6, v4
	v_mul_f32_e32 v6, v5, v4
	v_fma_f32 v7, -v3, v6, v5
	v_fmac_f32_e32 v6, v7, v4
	v_fma_f32 v3, -v3, v6, v5
	v_div_fmas_f32 v3, v3, v4, v6
	v_div_fixup_f32 v1, v3, v1, 1.0
	v_mul_f32_e32 v1, v2, v1
.LBB1_41:
	s_or_b64 exec, exec, s[2:3]
	v_cmp_gt_i32_e32 vcc, s13, v12
	s_and_b64 exec, exec, vcc
	s_cbranch_execnz .LBB1_36
	s_branch .LBB1_37
	.section	.rodata,"a",@progbits
	.p2align	6, 0x0
	.amdhsa_kernel _Z13topk_moe_cudaILi2ELb1EEvPKfPfPiS2_iiff15topk_moe_config
		.amdhsa_group_segment_fixed_size 0
		.amdhsa_private_segment_fixed_size 0
		.amdhsa_kernarg_size 312
		.amdhsa_user_sgpr_count 2
		.amdhsa_user_sgpr_dispatch_ptr 0
		.amdhsa_user_sgpr_queue_ptr 0
		.amdhsa_user_sgpr_kernarg_segment_ptr 1
		.amdhsa_user_sgpr_dispatch_id 0
		.amdhsa_user_sgpr_kernarg_preload_length 0
		.amdhsa_user_sgpr_kernarg_preload_offset 0
		.amdhsa_user_sgpr_private_segment_size 0
		.amdhsa_uses_dynamic_stack 0
		.amdhsa_enable_private_segment 0
		.amdhsa_system_sgpr_workgroup_id_x 1
		.amdhsa_system_sgpr_workgroup_id_y 0
		.amdhsa_system_sgpr_workgroup_id_z 0
		.amdhsa_system_sgpr_workgroup_info 0
		.amdhsa_system_vgpr_workitem_id 1
		.amdhsa_next_free_vgpr 26
		.amdhsa_next_free_sgpr 16
		.amdhsa_accum_offset 28
		.amdhsa_reserve_vcc 1
		.amdhsa_float_round_mode_32 0
		.amdhsa_float_round_mode_16_64 0
		.amdhsa_float_denorm_mode_32 3
		.amdhsa_float_denorm_mode_16_64 3
		.amdhsa_dx10_clamp 1
		.amdhsa_ieee_mode 1
		.amdhsa_fp16_overflow 0
		.amdhsa_tg_split 0
		.amdhsa_exception_fp_ieee_invalid_op 0
		.amdhsa_exception_fp_denorm_src 0
		.amdhsa_exception_fp_ieee_div_zero 0
		.amdhsa_exception_fp_ieee_overflow 0
		.amdhsa_exception_fp_ieee_underflow 0
		.amdhsa_exception_fp_ieee_inexact 0
		.amdhsa_exception_int_div_zero 0
	.end_amdhsa_kernel
	.section	.text._Z13topk_moe_cudaILi2ELb1EEvPKfPfPiS2_iiff15topk_moe_config,"axG",@progbits,_Z13topk_moe_cudaILi2ELb1EEvPKfPfPiS2_iiff15topk_moe_config,comdat
.Lfunc_end1:
	.size	_Z13topk_moe_cudaILi2ELb1EEvPKfPfPiS2_iiff15topk_moe_config, .Lfunc_end1-_Z13topk_moe_cudaILi2ELb1EEvPKfPfPiS2_iiff15topk_moe_config
                                        ; -- End function
	.set _Z13topk_moe_cudaILi2ELb1EEvPKfPfPiS2_iiff15topk_moe_config.num_vgpr, 26
	.set _Z13topk_moe_cudaILi2ELb1EEvPKfPfPiS2_iiff15topk_moe_config.num_agpr, 0
	.set _Z13topk_moe_cudaILi2ELb1EEvPKfPfPiS2_iiff15topk_moe_config.numbered_sgpr, 16
	.set _Z13topk_moe_cudaILi2ELb1EEvPKfPfPiS2_iiff15topk_moe_config.num_named_barrier, 0
	.set _Z13topk_moe_cudaILi2ELb1EEvPKfPfPiS2_iiff15topk_moe_config.private_seg_size, 0
	.set _Z13topk_moe_cudaILi2ELb1EEvPKfPfPiS2_iiff15topk_moe_config.uses_vcc, 1
	.set _Z13topk_moe_cudaILi2ELb1EEvPKfPfPiS2_iiff15topk_moe_config.uses_flat_scratch, 0
	.set _Z13topk_moe_cudaILi2ELb1EEvPKfPfPiS2_iiff15topk_moe_config.has_dyn_sized_stack, 0
	.set _Z13topk_moe_cudaILi2ELb1EEvPKfPfPiS2_iiff15topk_moe_config.has_recursion, 0
	.set _Z13topk_moe_cudaILi2ELb1EEvPKfPfPiS2_iiff15topk_moe_config.has_indirect_call, 0
	.section	.AMDGPU.csdata,"",@progbits
; Kernel info:
; codeLenInByte = 2772
; TotalNumSgprs: 22
; NumVgprs: 26
; NumAgprs: 0
; TotalNumVgprs: 26
; ScratchSize: 0
; MemoryBound: 0
; FloatMode: 240
; IeeeMode: 1
; LDSByteSize: 0 bytes/workgroup (compile time only)
; SGPRBlocks: 2
; VGPRBlocks: 3
; NumSGPRsForWavesPerEU: 22
; NumVGPRsForWavesPerEU: 26
; AccumOffset: 28
; Occupancy: 8
; WaveLimiterHint : 0
; COMPUTE_PGM_RSRC2:SCRATCH_EN: 0
; COMPUTE_PGM_RSRC2:USER_SGPR: 2
; COMPUTE_PGM_RSRC2:TRAP_HANDLER: 0
; COMPUTE_PGM_RSRC2:TGID_X_EN: 1
; COMPUTE_PGM_RSRC2:TGID_Y_EN: 0
; COMPUTE_PGM_RSRC2:TGID_Z_EN: 0
; COMPUTE_PGM_RSRC2:TIDIG_COMP_CNT: 1
; COMPUTE_PGM_RSRC3_GFX90A:ACCUM_OFFSET: 6
; COMPUTE_PGM_RSRC3_GFX90A:TG_SPLIT: 0
	.section	.text._Z13topk_moe_cudaILi4ELb1EEvPKfPfPiS2_iiff15topk_moe_config,"axG",@progbits,_Z13topk_moe_cudaILi4ELb1EEvPKfPfPiS2_iiff15topk_moe_config,comdat
	.protected	_Z13topk_moe_cudaILi4ELb1EEvPKfPfPiS2_iiff15topk_moe_config ; -- Begin function _Z13topk_moe_cudaILi4ELb1EEvPKfPfPiS2_iiff15topk_moe_config
	.globl	_Z13topk_moe_cudaILi4ELb1EEvPKfPfPiS2_iiff15topk_moe_config
	.p2align	8
	.type	_Z13topk_moe_cudaILi4ELb1EEvPKfPfPiS2_iiff15topk_moe_config,@function
_Z13topk_moe_cudaILi4ELb1EEvPKfPfPiS2_iiff15topk_moe_config: ; @_Z13topk_moe_cudaILi4ELb1EEvPKfPfPiS2_iiff15topk_moe_config
; %bb.0:
	s_load_dword s3, s[0:1], 0x44
	s_load_dwordx4 s[12:15], s[0:1], 0x20
	v_bfe_u32 v1, v0, 10, 10
	s_waitcnt lgkmcnt(0)
	s_lshr_b32 s3, s3, 16
	s_mul_i32 s2, s2, s3
	v_add_u32_e32 v11, s2, v1
	v_cmp_gt_i32_e32 vcc, s12, v11
	s_and_saveexec_b64 s[2:3], vcc
	s_cbranch_execz .LBB2_37
; %bb.1:
	v_mov_b32_e32 v1, 0
	global_load_ushort v3, v1, s[0:1] offset:48
	global_load_sbyte v6, v1, s[0:1] offset:50
	s_load_dwordx8 s[4:11], s[0:1], 0x0
	v_lshlrev_b32_e32 v4, 2, v11
	v_and_b32_e32 v12, 0x3ff, v0
	v_mov_b32_e32 v2, 0xff800000
	v_ashrrev_i32_e32 v5, 31, v4
	v_cmp_gt_u32_e64 s[2:3], 4, v12
	v_lshlrev_b32_e32 v0, 2, v12
	s_waitcnt vmcnt(1)
	v_readfirstlane_b32 s12, v3
	s_and_saveexec_b64 s[0:1], s[2:3]
	s_cbranch_execz .LBB2_3
; %bb.2:
	s_waitcnt lgkmcnt(0)
	v_mov_b32_e32 v8, s4
	v_mov_b32_e32 v9, s5
	v_lshl_add_u64 v[8:9], v[4:5], 2, v[8:9]
	v_lshl_add_u64 v[8:9], v[8:9], 0, v[0:1]
	global_load_dword v2, v[8:9], off
.LBB2_3:
	s_or_b64 exec, exec, s[0:1]
	s_waitcnt vmcnt(0)
	v_and_b32_e32 v1, 1, v6
	v_cmp_eq_u32_e64 s[0:1], 1, v1
	s_and_b64 vcc, exec, s[0:1]
	s_cbranch_vccnz .LBB2_9
; %bb.4:
	v_and_b32_e32 v1, 1, v3
	v_cmp_eq_u32_e32 vcc, 0, v1
	s_cbranch_vccz .LBB2_6
; %bb.5:
	v_mbcnt_lo_u32_b32 v3, -1, 0
	v_mbcnt_hi_u32_b32 v3, -1, v3
	v_and_b32_e32 v6, 0x60, v3
	v_add_u32_e32 v6, 32, v6
	v_xor_b32_e32 v7, 16, v3
	v_cmp_lt_i32_e32 vcc, v7, v6
	v_max_f32_e32 v1, v2, v2
	v_max_f32_e32 v1, 0xff800000, v1
	v_cndmask_b32_e32 v7, v3, v7, vcc
	v_lshlrev_b32_e32 v7, 2, v7
	ds_bpermute_b32 v8, v7, v1
	s_waitcnt lgkmcnt(0)
	s_mov_b32 s4, 0x3fb8aa3b
	v_max_f32_e32 v8, v8, v8
	v_max_f32_e32 v1, v1, v8
	v_xor_b32_e32 v8, 8, v3
	v_cmp_lt_i32_e32 vcc, v8, v6
	s_nop 1
	v_cndmask_b32_e32 v8, v3, v8, vcc
	v_lshlrev_b32_e32 v8, 2, v8
	ds_bpermute_b32 v9, v8, v1
	s_waitcnt lgkmcnt(0)
	v_max_f32_e32 v9, v9, v9
	v_max_f32_e32 v1, v1, v9
	v_xor_b32_e32 v9, 4, v3
	v_cmp_lt_i32_e32 vcc, v9, v6
	s_nop 1
	v_cndmask_b32_e32 v9, v3, v9, vcc
	v_lshlrev_b32_e32 v9, 2, v9
	ds_bpermute_b32 v10, v9, v1
	s_waitcnt lgkmcnt(0)
	v_max_f32_e32 v10, v10, v10
	v_max_f32_e32 v1, v1, v10
	v_xor_b32_e32 v10, 2, v3
	v_cmp_lt_i32_e32 vcc, v10, v6
	s_nop 1
	v_cndmask_b32_e32 v10, v3, v10, vcc
	v_lshlrev_b32_e32 v10, 2, v10
	ds_bpermute_b32 v13, v10, v1
	s_waitcnt lgkmcnt(0)
	v_max_f32_e32 v13, v13, v13
	v_max_f32_e32 v1, v1, v13
	v_xor_b32_e32 v13, 1, v3
	v_cmp_lt_i32_e32 vcc, v13, v6
	s_nop 1
	v_cndmask_b32_e32 v3, v3, v13, vcc
	v_lshlrev_b32_e32 v3, 2, v3
	ds_bpermute_b32 v6, v3, v1
	s_waitcnt lgkmcnt(0)
	v_max_f32_e32 v6, v6, v6
	v_max_f32_e32 v1, v1, v6
	v_sub_f32_e32 v1, v2, v1
	v_mul_f32_e32 v6, 0x3fb8aa3b, v1
	v_fma_f32 v13, v1, s4, -v6
	v_rndne_f32_e32 v14, v6
	v_fmamk_f32 v13, v1, 0x32a5705f, v13
	v_sub_f32_e32 v6, v6, v14
	v_add_f32_e32 v6, v6, v13
	v_exp_f32_e32 v6, v6
	v_cvt_i32_f32_e32 v13, v14
	s_mov_b32 s4, 0xc2ce8ed0
	v_cmp_ngt_f32_e32 vcc, s4, v1
	s_mov_b32 s4, 0x42b17218
	v_ldexp_f32 v6, v6, v13
	v_cndmask_b32_e32 v6, 0, v6, vcc
	v_mov_b32_e32 v13, 0x7f800000
	v_cmp_nlt_f32_e32 vcc, s4, v1
	s_nop 1
	v_cndmask_b32_e32 v1, v13, v6, vcc
	ds_bpermute_b32 v6, v7, v1
	s_waitcnt lgkmcnt(0)
	v_add_f32_e32 v6, v1, v6
	ds_bpermute_b32 v7, v8, v6
	s_waitcnt lgkmcnt(0)
	v_add_f32_e32 v6, v6, v7
	;; [unrolled: 3-line block ×5, first 2 shown]
	v_div_scale_f32 v6, s[4:5], v3, v3, 1.0
	v_rcp_f32_e32 v7, v6
	v_div_scale_f32 v8, vcc, 1.0, v3, 1.0
	v_fma_f32 v9, -v6, v7, 1.0
	v_fmac_f32_e32 v7, v9, v7
	v_mul_f32_e32 v9, v8, v7
	v_fma_f32 v10, -v6, v9, v8
	v_fmac_f32_e32 v9, v10, v7
	v_fma_f32 v6, -v6, v9, v8
	v_div_fmas_f32 v6, v6, v7, v9
	v_div_fixup_f32 v3, v6, v3, 1.0
	v_mul_f32_e32 v1, v1, v3
	s_cbranch_execz .LBB2_7
	s_branch .LBB2_8
.LBB2_6:
	s_waitcnt lgkmcnt(0)
                                        ; implicit-def: $vgpr1
.LBB2_7:
	v_mul_f32_e32 v1, 0xbfb8aa3b, v2
	s_mov_b32 s4, 0xbfb8aa3b
	v_rndne_f32_e32 v3, v1
	v_sub_f32_e32 v6, v1, v3
	v_fma_f32 v1, v2, s4, -v1
	v_fmamk_f32 v1, v2, 0xb2a5705f, v1
	v_add_f32_e32 v1, v6, v1
	v_exp_f32_e32 v1, v1
	v_cvt_i32_f32_e32 v3, v3
	s_mov_b32 s4, 0x42ce8ed0
	v_cmp_nlt_f32_e32 vcc, s4, v2
	s_mov_b32 s4, 0xc2b17218
	v_ldexp_f32 v1, v1, v3
	v_cndmask_b32_e32 v1, 0, v1, vcc
	v_mov_b32_e32 v3, 0x7f800000
	v_cmp_ngt_f32_e32 vcc, s4, v2
	s_nop 1
	v_cndmask_b32_e32 v1, v3, v1, vcc
	v_add_f32_e32 v1, 1.0, v1
	v_div_scale_f32 v2, s[4:5], v1, v1, 1.0
	v_rcp_f32_e32 v3, v2
	s_nop 0
	v_fma_f32 v6, -v2, v3, 1.0
	v_fmac_f32_e32 v3, v6, v3
	v_div_scale_f32 v6, vcc, 1.0, v1, 1.0
	v_mul_f32_e32 v7, v6, v3
	v_fma_f32 v8, -v2, v7, v6
	v_fmac_f32_e32 v7, v8, v3
	v_fma_f32 v2, -v2, v7, v6
	v_div_fmas_f32 v2, v2, v3, v7
	v_div_fixup_f32 v1, v2, v1, 1.0
.LBB2_8:
	v_mov_b32_e32 v2, v1
.LBB2_9:
	v_mov_b32_e32 v1, 0xff7fffff
	v_cmp_o_f32_e32 vcc, v2, v2
	v_mov_b32_e32 v3, 0xff800000
	s_nop 0
	v_cndmask_b32_e32 v2, v1, v2, vcc
	s_waitcnt lgkmcnt(0)
	s_and_saveexec_b64 s[4:5], s[2:3]
	s_cbranch_execz .LBB2_11
; %bb.10:
	global_load_dword v1, v0, s[10:11]
	s_waitcnt vmcnt(0)
	v_add_f32_e32 v3, v2, v1
.LBB2_11:
	s_or_b64 exec, exec, s[4:5]
	s_lshr_b32 s4, s12, 8
	s_cmp_gt_i32 s13, 0
	s_cbranch_scc1 .LBB2_13
; %bb.12:
	s_bitcmp1_b32 s4, 0
	s_mov_b64 s[2:3], 0
	s_cselect_b64 s[10:11], -1, 0
	s_branch .LBB2_14
.LBB2_13:
	s_mov_b64 s[2:3], -1
                                        ; implicit-def: $sgpr10_sgpr11
.LBB2_14:
	v_mov_b32_e32 v14, 0
	s_andn2_b64 vcc, exec, s[2:3]
	v_mbcnt_lo_u32_b32 v13, -1, 0
	v_mov_b32_e32 v1, 0
	s_cbranch_vccnz .LBB2_33
; %bb.15:
	v_mov_b32_e32 v6, s8
	v_mov_b32_e32 v7, s9
	v_mbcnt_hi_u32_b32 v1, -1, v13
	v_lshl_add_u64 v[4:5], v[4:5], 2, v[6:7]
	v_and_b32_e32 v6, 0x60, v1
	v_add_u32_e32 v6, 32, v6
	v_xor_b32_e32 v7, 16, v1
	v_cmp_lt_i32_e32 vcc, v7, v6
	s_bitcmp1_b32 s4, 0
	s_mov_b32 s12, 0
	v_cndmask_b32_e32 v7, v1, v7, vcc
	v_lshlrev_b32_e32 v15, 2, v7
	v_xor_b32_e32 v7, 8, v1
	v_cmp_lt_i32_e32 vcc, v7, v6
	s_cselect_b64 s[10:11], -1, 0
	v_mov_b32_e32 v14, 0
	v_cndmask_b32_e32 v7, v1, v7, vcc
	v_lshlrev_b32_e32 v16, 2, v7
	v_xor_b32_e32 v7, 4, v1
	v_cmp_lt_i32_e32 vcc, v7, v6
	v_mov_b32_e32 v20, 0xff800000
	s_nop 0
	v_cndmask_b32_e32 v7, v1, v7, vcc
	v_lshlrev_b32_e32 v17, 2, v7
	v_xor_b32_e32 v7, 2, v1
	v_cmp_lt_i32_e32 vcc, v7, v6
	s_nop 1
	v_cndmask_b32_e32 v7, v1, v7, vcc
	v_lshlrev_b32_e32 v18, 2, v7
	v_xor_b32_e32 v7, 1, v1
	v_cmp_lt_i32_e32 vcc, v7, v6
	s_nop 1
	v_cndmask_b32_e32 v1, v1, v7, vcc
	v_lshlrev_b32_e32 v19, 2, v1
	v_mov_b32_e32 v1, 0
	s_branch .LBB2_17
.LBB2_16:                               ;   in Loop: Header=BB2_17 Depth=1
	s_or_b64 exec, exec, s[2:3]
	s_and_b32 s2, s12, 31
	v_cndmask_b32_e32 v3, v3, v20, vcc
	v_cmp_eq_u32_e32 vcc, s2, v12
	s_add_i32 s12, s12, 1
	s_cmp_eq_u32 s13, s12
	v_cndmask_b32_e32 v1, v1, v6, vcc
	v_lshl_add_u64 v[4:5], v[4:5], 0, 4
	s_cbranch_scc1 .LBB2_33
.LBB2_17:                               ; =>This Inner Loop Header: Depth=1
	ds_bpermute_b32 v9, v15, v3
	ds_bpermute_b32 v10, v15, v12
	;; [unrolled: 1-line block ×3, first 2 shown]
	v_mov_b32_e32 v21, v3
	v_mov_b32_e32 v23, v2
	s_waitcnt lgkmcnt(2)
	v_cmp_eq_f32_e64 s[2:3], v3, v9
	s_waitcnt lgkmcnt(1)
	v_cmp_lt_i32_e64 s[4:5], v10, v12
	v_cmp_lt_f32_e32 vcc, v3, v9
	s_and_b64 s[2:3], s[2:3], s[4:5]
	s_or_b64 s[4:5], vcc, s[2:3]
	v_mov_b32_e32 v22, v12
	v_mov_b64_e32 v[6:7], v[2:3]
	s_and_saveexec_b64 s[2:3], s[4:5]
	s_cbranch_execz .LBB2_19
; %bb.18:                               ;   in Loop: Header=BB2_17 Depth=1
	v_mov_b32_e32 v21, v9
	s_waitcnt lgkmcnt(0)
	v_mov_b32_e32 v23, v8
	v_mov_b32_e32 v22, v10
	v_mov_b64_e32 v[6:7], v[8:9]
.LBB2_19:                               ;   in Loop: Header=BB2_17 Depth=1
	s_or_b64 exec, exec, s[2:3]
	ds_bpermute_b32 v25, v16, v21
	ds_bpermute_b32 v10, v16, v23
	;; [unrolled: 1-line block ×3, first 2 shown]
	s_waitcnt lgkmcnt(2)
	v_cmp_lt_f32_e64 s[4:5], v7, v25
	v_cmp_nlt_f32_e32 vcc, v7, v25
	s_and_saveexec_b64 s[8:9], vcc
	s_cbranch_execz .LBB2_21
; %bb.20:                               ;   in Loop: Header=BB2_17 Depth=1
	v_cmp_eq_f32_e32 vcc, v7, v25
	s_waitcnt lgkmcnt(0)
	v_cmp_lt_i32_e64 s[2:3], v24, v22
	s_and_b64 s[2:3], vcc, s[2:3]
	s_andn2_b64 s[4:5], s[4:5], exec
	s_and_b64 s[2:3], s[2:3], exec
	s_or_b64 s[4:5], s[4:5], s[2:3]
.LBB2_21:                               ;   in Loop: Header=BB2_17 Depth=1
	s_or_b64 exec, exec, s[8:9]
	v_mov_b64_e32 v[8:9], v[6:7]
	s_and_saveexec_b64 s[2:3], s[4:5]
	s_cbranch_execz .LBB2_23
; %bb.22:                               ;   in Loop: Header=BB2_17 Depth=1
	v_mov_b32_e32 v7, v25
	v_mov_b32_e32 v21, v25
	s_waitcnt lgkmcnt(1)
	v_mov_b32_e32 v23, v10
	s_waitcnt lgkmcnt(0)
	v_mov_b32_e32 v22, v24
	v_mov_b64_e32 v[8:9], v[10:11]
.LBB2_23:                               ;   in Loop: Header=BB2_17 Depth=1
	s_or_b64 exec, exec, s[2:3]
	s_waitcnt lgkmcnt(1)
	ds_bpermute_b32 v10, v17, v21
	ds_bpermute_b32 v6, v17, v23
	;; [unrolled: 1-line block ×3, first 2 shown]
	s_waitcnt lgkmcnt(2)
	v_cmp_lt_f32_e64 s[4:5], v7, v10
	v_cmp_nlt_f32_e32 vcc, v7, v10
	s_and_saveexec_b64 s[8:9], vcc
	s_cbranch_execz .LBB2_25
; %bb.24:                               ;   in Loop: Header=BB2_17 Depth=1
	v_cmp_eq_f32_e32 vcc, v7, v10
	s_waitcnt lgkmcnt(0)
	v_cmp_lt_i32_e64 s[2:3], v9, v22
	s_and_b64 s[2:3], vcc, s[2:3]
	s_andn2_b64 s[4:5], s[4:5], exec
	s_and_b64 s[2:3], s[2:3], exec
	s_or_b64 s[4:5], s[4:5], s[2:3]
.LBB2_25:                               ;   in Loop: Header=BB2_17 Depth=1
	s_or_b64 exec, exec, s[8:9]
	s_and_saveexec_b64 s[2:3], s[4:5]
	s_cbranch_execz .LBB2_27
; %bb.26:                               ;   in Loop: Header=BB2_17 Depth=1
	v_mov_b32_e32 v7, v10
	v_mov_b32_e32 v21, v10
	s_waitcnt lgkmcnt(1)
	v_mov_b32_e32 v23, v6
	s_waitcnt lgkmcnt(0)
	v_mov_b32_e32 v22, v9
	v_mov_b64_e32 v[8:9], v[6:7]
.LBB2_27:                               ;   in Loop: Header=BB2_17 Depth=1
	s_or_b64 exec, exec, s[2:3]
	ds_bpermute_b32 v10, v18, v21
	s_waitcnt lgkmcnt(2)
	ds_bpermute_b32 v6, v18, v23
	s_waitcnt lgkmcnt(2)
	ds_bpermute_b32 v9, v18, v22
	s_waitcnt lgkmcnt(2)
	v_cmp_lt_f32_e64 s[4:5], v7, v10
	v_cmp_nlt_f32_e32 vcc, v7, v10
	s_and_saveexec_b64 s[8:9], vcc
	s_cbranch_execz .LBB2_29
; %bb.28:                               ;   in Loop: Header=BB2_17 Depth=1
	v_cmp_eq_f32_e32 vcc, v7, v10
	s_waitcnt lgkmcnt(0)
	v_cmp_lt_i32_e64 s[2:3], v9, v22
	s_and_b64 s[2:3], vcc, s[2:3]
	s_andn2_b64 s[4:5], s[4:5], exec
	s_and_b64 s[2:3], s[2:3], exec
	s_or_b64 s[4:5], s[4:5], s[2:3]
.LBB2_29:                               ;   in Loop: Header=BB2_17 Depth=1
	s_or_b64 exec, exec, s[8:9]
	s_and_saveexec_b64 s[2:3], s[4:5]
	s_cbranch_execz .LBB2_31
; %bb.30:                               ;   in Loop: Header=BB2_17 Depth=1
	v_mov_b32_e32 v7, v10
	v_mov_b32_e32 v21, v10
	s_waitcnt lgkmcnt(1)
	v_mov_b32_e32 v23, v6
	s_waitcnt lgkmcnt(0)
	v_mov_b32_e32 v22, v9
	v_mov_b64_e32 v[8:9], v[6:7]
.LBB2_31:                               ;   in Loop: Header=BB2_17 Depth=1
	s_or_b64 exec, exec, s[2:3]
	s_waitcnt lgkmcnt(1)
	ds_bpermute_b32 v6, v19, v21
	s_waitcnt lgkmcnt(1)
	ds_bpermute_b32 v9, v19, v22
	ds_bpermute_b32 v10, v19, v23
	s_waitcnt lgkmcnt(2)
	v_cmp_eq_f32_e64 s[2:3], v7, v6
	s_waitcnt lgkmcnt(1)
	v_cmp_lt_i32_e64 s[4:5], v9, v22
	v_cmp_lt_f32_e32 vcc, v7, v6
	s_and_b64 s[2:3], s[2:3], s[4:5]
	s_or_b64 vcc, vcc, s[2:3]
	v_cndmask_b32_e32 v7, v22, v9, vcc
	s_waitcnt lgkmcnt(0)
	v_cndmask_b32_e32 v6, v8, v10, vcc
	v_and_b32_e32 v8, 31, v7
	v_cmp_eq_u32_e32 vcc, v8, v12
	s_and_saveexec_b64 s[2:3], vcc
	s_cbranch_execz .LBB2_16
; %bb.32:                               ;   in Loop: Header=BB2_17 Depth=1
	v_add_f32_e32 v8, v14, v6
	v_cndmask_b32_e64 v14, v14, v8, s[10:11]
	global_store_dword v[4:5], v7, off
	s_branch .LBB2_16
.LBB2_33:
	s_and_b64 vcc, exec, s[10:11]
	s_cbranch_vccnz .LBB2_38
; %bb.34:
	s_andn2_b64 vcc, exec, s[0:1]
	v_cmp_gt_i32_e64 s[0:1], s13, v12
	s_cbranch_vccz .LBB2_39
.LBB2_35:
	v_cmp_gt_i32_e32 vcc, s13, v12
	s_and_b64 exec, exec, vcc
	s_cbranch_execz .LBB2_37
.LBB2_36:
	s_waitcnt lgkmcnt(0)
	v_mul_lo_u32 v4, v11, s13
	v_mov_b32_e32 v2, s6
	v_mov_b32_e32 v3, s7
	v_ashrrev_i32_e32 v5, 31, v4
	v_lshl_add_u64 v[2:3], v[4:5], 2, v[2:3]
	v_mul_f32_e32 v4, s15, v1
	v_mov_b32_e32 v1, 0
	v_lshl_add_u64 v[0:1], v[2:3], 0, v[0:1]
	global_store_dword v[0:1], v4, off
.LBB2_37:
	s_endpgm
.LBB2_38:
	v_mbcnt_hi_u32_b32 v2, -1, v13
	v_and_b32_e32 v3, 0x60, v2
	v_add_u32_e32 v3, 32, v3
	v_xor_b32_e32 v4, 16, v2
	v_cmp_lt_i32_e32 vcc, v4, v3
	v_xor_b32_e32 v5, 8, v2
	v_xor_b32_e32 v6, 4, v2
	v_cndmask_b32_e32 v4, v2, v4, vcc
	v_lshlrev_b32_e32 v4, 2, v4
	ds_bpermute_b32 v4, v4, v14
	v_cmp_lt_i32_e32 vcc, v5, v3
	s_waitcnt lgkmcnt(0)
	v_add_f32_e32 v4, v14, v4
	v_cndmask_b32_e32 v5, v2, v5, vcc
	v_lshlrev_b32_e32 v5, 2, v5
	ds_bpermute_b32 v5, v5, v4
	v_cmp_lt_i32_e32 vcc, v6, v3
	s_waitcnt lgkmcnt(0)
	v_add_f32_e32 v4, v4, v5
	v_cndmask_b32_e32 v5, v2, v6, vcc
	v_lshlrev_b32_e32 v5, 2, v5
	ds_bpermute_b32 v5, v5, v4
	v_xor_b32_e32 v6, 2, v2
	v_cmp_lt_i32_e32 vcc, v6, v3
	s_waitcnt lgkmcnt(0)
	v_add_f32_e32 v4, v4, v5
	v_cndmask_b32_e32 v5, v2, v6, vcc
	v_lshlrev_b32_e32 v5, 2, v5
	ds_bpermute_b32 v5, v5, v4
	v_xor_b32_e32 v6, 1, v2
	v_cmp_lt_i32_e32 vcc, v6, v3
	v_max_f32_e64 v3, s14, s14
	s_waitcnt lgkmcnt(0)
	v_add_f32_e32 v4, v4, v5
	v_cndmask_b32_e32 v2, v2, v6, vcc
	v_lshlrev_b32_e32 v2, 2, v2
	ds_bpermute_b32 v2, v2, v4
	s_waitcnt lgkmcnt(0)
	v_add_f32_e32 v2, v4, v2
	v_max_f32_e32 v2, v2, v3
	v_div_scale_f32 v3, s[2:3], v2, v2, 1.0
	v_rcp_f32_e32 v4, v3
	v_div_scale_f32 v5, vcc, 1.0, v2, 1.0
	v_fma_f32 v6, -v3, v4, 1.0
	v_fmac_f32_e32 v4, v6, v4
	v_mul_f32_e32 v6, v5, v4
	v_fma_f32 v7, -v3, v6, v5
	v_fmac_f32_e32 v6, v7, v4
	v_fma_f32 v3, -v3, v6, v5
	v_div_fmas_f32 v3, v3, v4, v6
	v_div_fixup_f32 v2, v3, v2, 1.0
	v_mul_f32_e32 v1, v2, v1
	s_andn2_b64 vcc, exec, s[0:1]
	v_cmp_gt_i32_e64 s[0:1], s13, v12
	s_cbranch_vccnz .LBB2_35
.LBB2_39:
	v_max_f32_e32 v2, v1, v1
	v_max_f32_e32 v2, 0xff800000, v2
	v_mov_b32_e32 v3, 0xff800000
	v_cndmask_b32_e64 v2, v3, v2, s[0:1]
	v_mbcnt_hi_u32_b32 v3, -1, v13
	v_and_b32_e32 v4, 0x60, v3
	v_add_u32_e32 v4, 32, v4
	v_xor_b32_e32 v5, 16, v3
	v_cmp_lt_i32_e32 vcc, v5, v4
	s_mov_b32 s2, 0x3fb8aa3b
	s_nop 0
	v_cndmask_b32_e32 v5, v3, v5, vcc
	v_lshlrev_b32_e32 v5, 2, v5
	ds_bpermute_b32 v6, v5, v2
	s_waitcnt lgkmcnt(0)
	v_max_f32_e32 v6, v6, v6
	v_max_f32_e32 v2, v2, v6
	v_xor_b32_e32 v6, 8, v3
	v_cmp_lt_i32_e32 vcc, v6, v4
	s_nop 1
	v_cndmask_b32_e32 v6, v3, v6, vcc
	v_lshlrev_b32_e32 v6, 2, v6
	ds_bpermute_b32 v7, v6, v2
	s_waitcnt lgkmcnt(0)
	v_max_f32_e32 v7, v7, v7
	v_max_f32_e32 v2, v2, v7
	v_xor_b32_e32 v7, 4, v3
	v_cmp_lt_i32_e32 vcc, v7, v4
	;; [unrolled: 9-line block ×4, first 2 shown]
	s_nop 1
	v_cndmask_b32_e32 v3, v3, v9, vcc
	v_lshlrev_b32_e32 v4, 2, v3
	ds_bpermute_b32 v3, v4, v2
	s_waitcnt lgkmcnt(0)
	v_max_f32_e32 v3, v3, v3
	v_max_f32_e32 v2, v2, v3
	v_sub_f32_e32 v1, v1, v2
	v_mul_f32_e32 v2, 0x3fb8aa3b, v1
	v_fma_f32 v3, v1, s2, -v2
	v_rndne_f32_e32 v9, v2
	v_fmamk_f32 v3, v1, 0x32a5705f, v3
	v_sub_f32_e32 v2, v2, v9
	v_add_f32_e32 v2, v2, v3
	v_exp_f32_e32 v2, v2
	v_cvt_i32_f32_e32 v3, v9
	s_mov_b32 s2, 0xc2ce8ed0
	v_cmp_ngt_f32_e32 vcc, s2, v1
	s_mov_b32 s2, 0x42b17218
	v_ldexp_f32 v2, v2, v3
	v_cndmask_b32_e32 v2, 0, v2, vcc
	v_mov_b32_e32 v3, 0x7f800000
	v_cmp_nlt_f32_e32 vcc, s2, v1
	s_nop 1
	v_cndmask_b32_e32 v2, v3, v2, vcc
	v_cndmask_b32_e64 v1, 0, v2, s[0:1]
	ds_bpermute_b32 v3, v5, v1
	s_waitcnt lgkmcnt(0)
	v_add_f32_e32 v1, v1, v3
	ds_bpermute_b32 v3, v6, v1
	s_waitcnt lgkmcnt(0)
	v_add_f32_e32 v1, v1, v3
	;; [unrolled: 3-line block ×4, first 2 shown]
	ds_bpermute_b32 v4, v4, v3
	v_mov_b32_e32 v1, 0
	s_and_saveexec_b64 s[2:3], s[0:1]
	s_cbranch_execz .LBB2_41
; %bb.40:
	s_waitcnt lgkmcnt(0)
	v_add_f32_e32 v1, v3, v4
	v_div_scale_f32 v3, s[0:1], v1, v1, 1.0
	v_rcp_f32_e32 v4, v3
	v_div_scale_f32 v5, vcc, 1.0, v1, 1.0
	v_fma_f32 v6, -v3, v4, 1.0
	v_fmac_f32_e32 v4, v6, v4
	v_mul_f32_e32 v6, v5, v4
	v_fma_f32 v7, -v3, v6, v5
	v_fmac_f32_e32 v6, v7, v4
	v_fma_f32 v3, -v3, v6, v5
	v_div_fmas_f32 v3, v3, v4, v6
	v_div_fixup_f32 v1, v3, v1, 1.0
	v_mul_f32_e32 v1, v2, v1
.LBB2_41:
	s_or_b64 exec, exec, s[2:3]
	v_cmp_gt_i32_e32 vcc, s13, v12
	s_and_b64 exec, exec, vcc
	s_cbranch_execnz .LBB2_36
	s_branch .LBB2_37
	.section	.rodata,"a",@progbits
	.p2align	6, 0x0
	.amdhsa_kernel _Z13topk_moe_cudaILi4ELb1EEvPKfPfPiS2_iiff15topk_moe_config
		.amdhsa_group_segment_fixed_size 0
		.amdhsa_private_segment_fixed_size 0
		.amdhsa_kernarg_size 312
		.amdhsa_user_sgpr_count 2
		.amdhsa_user_sgpr_dispatch_ptr 0
		.amdhsa_user_sgpr_queue_ptr 0
		.amdhsa_user_sgpr_kernarg_segment_ptr 1
		.amdhsa_user_sgpr_dispatch_id 0
		.amdhsa_user_sgpr_kernarg_preload_length 0
		.amdhsa_user_sgpr_kernarg_preload_offset 0
		.amdhsa_user_sgpr_private_segment_size 0
		.amdhsa_uses_dynamic_stack 0
		.amdhsa_enable_private_segment 0
		.amdhsa_system_sgpr_workgroup_id_x 1
		.amdhsa_system_sgpr_workgroup_id_y 0
		.amdhsa_system_sgpr_workgroup_id_z 0
		.amdhsa_system_sgpr_workgroup_info 0
		.amdhsa_system_vgpr_workitem_id 1
		.amdhsa_next_free_vgpr 26
		.amdhsa_next_free_sgpr 16
		.amdhsa_accum_offset 28
		.amdhsa_reserve_vcc 1
		.amdhsa_float_round_mode_32 0
		.amdhsa_float_round_mode_16_64 0
		.amdhsa_float_denorm_mode_32 3
		.amdhsa_float_denorm_mode_16_64 3
		.amdhsa_dx10_clamp 1
		.amdhsa_ieee_mode 1
		.amdhsa_fp16_overflow 0
		.amdhsa_tg_split 0
		.amdhsa_exception_fp_ieee_invalid_op 0
		.amdhsa_exception_fp_denorm_src 0
		.amdhsa_exception_fp_ieee_div_zero 0
		.amdhsa_exception_fp_ieee_overflow 0
		.amdhsa_exception_fp_ieee_underflow 0
		.amdhsa_exception_fp_ieee_inexact 0
		.amdhsa_exception_int_div_zero 0
	.end_amdhsa_kernel
	.section	.text._Z13topk_moe_cudaILi4ELb1EEvPKfPfPiS2_iiff15topk_moe_config,"axG",@progbits,_Z13topk_moe_cudaILi4ELb1EEvPKfPfPiS2_iiff15topk_moe_config,comdat
.Lfunc_end2:
	.size	_Z13topk_moe_cudaILi4ELb1EEvPKfPfPiS2_iiff15topk_moe_config, .Lfunc_end2-_Z13topk_moe_cudaILi4ELb1EEvPKfPfPiS2_iiff15topk_moe_config
                                        ; -- End function
	.set _Z13topk_moe_cudaILi4ELb1EEvPKfPfPiS2_iiff15topk_moe_config.num_vgpr, 26
	.set _Z13topk_moe_cudaILi4ELb1EEvPKfPfPiS2_iiff15topk_moe_config.num_agpr, 0
	.set _Z13topk_moe_cudaILi4ELb1EEvPKfPfPiS2_iiff15topk_moe_config.numbered_sgpr, 16
	.set _Z13topk_moe_cudaILi4ELb1EEvPKfPfPiS2_iiff15topk_moe_config.num_named_barrier, 0
	.set _Z13topk_moe_cudaILi4ELb1EEvPKfPfPiS2_iiff15topk_moe_config.private_seg_size, 0
	.set _Z13topk_moe_cudaILi4ELb1EEvPKfPfPiS2_iiff15topk_moe_config.uses_vcc, 1
	.set _Z13topk_moe_cudaILi4ELb1EEvPKfPfPiS2_iiff15topk_moe_config.uses_flat_scratch, 0
	.set _Z13topk_moe_cudaILi4ELb1EEvPKfPfPiS2_iiff15topk_moe_config.has_dyn_sized_stack, 0
	.set _Z13topk_moe_cudaILi4ELb1EEvPKfPfPiS2_iiff15topk_moe_config.has_recursion, 0
	.set _Z13topk_moe_cudaILi4ELb1EEvPKfPfPiS2_iiff15topk_moe_config.has_indirect_call, 0
	.section	.AMDGPU.csdata,"",@progbits
; Kernel info:
; codeLenInByte = 2772
; TotalNumSgprs: 22
; NumVgprs: 26
; NumAgprs: 0
; TotalNumVgprs: 26
; ScratchSize: 0
; MemoryBound: 0
; FloatMode: 240
; IeeeMode: 1
; LDSByteSize: 0 bytes/workgroup (compile time only)
; SGPRBlocks: 2
; VGPRBlocks: 3
; NumSGPRsForWavesPerEU: 22
; NumVGPRsForWavesPerEU: 26
; AccumOffset: 28
; Occupancy: 8
; WaveLimiterHint : 0
; COMPUTE_PGM_RSRC2:SCRATCH_EN: 0
; COMPUTE_PGM_RSRC2:USER_SGPR: 2
; COMPUTE_PGM_RSRC2:TRAP_HANDLER: 0
; COMPUTE_PGM_RSRC2:TGID_X_EN: 1
; COMPUTE_PGM_RSRC2:TGID_Y_EN: 0
; COMPUTE_PGM_RSRC2:TGID_Z_EN: 0
; COMPUTE_PGM_RSRC2:TIDIG_COMP_CNT: 1
; COMPUTE_PGM_RSRC3_GFX90A:ACCUM_OFFSET: 6
; COMPUTE_PGM_RSRC3_GFX90A:TG_SPLIT: 0
	.section	.text._Z13topk_moe_cudaILi8ELb1EEvPKfPfPiS2_iiff15topk_moe_config,"axG",@progbits,_Z13topk_moe_cudaILi8ELb1EEvPKfPfPiS2_iiff15topk_moe_config,comdat
	.protected	_Z13topk_moe_cudaILi8ELb1EEvPKfPfPiS2_iiff15topk_moe_config ; -- Begin function _Z13topk_moe_cudaILi8ELb1EEvPKfPfPiS2_iiff15topk_moe_config
	.globl	_Z13topk_moe_cudaILi8ELb1EEvPKfPfPiS2_iiff15topk_moe_config
	.p2align	8
	.type	_Z13topk_moe_cudaILi8ELb1EEvPKfPfPiS2_iiff15topk_moe_config,@function
_Z13topk_moe_cudaILi8ELb1EEvPKfPfPiS2_iiff15topk_moe_config: ; @_Z13topk_moe_cudaILi8ELb1EEvPKfPfPiS2_iiff15topk_moe_config
; %bb.0:
	s_load_dword s3, s[0:1], 0x44
	s_load_dwordx4 s[12:15], s[0:1], 0x20
	v_bfe_u32 v1, v0, 10, 10
	s_waitcnt lgkmcnt(0)
	s_lshr_b32 s3, s3, 16
	s_mul_i32 s2, s2, s3
	v_add_u32_e32 v11, s2, v1
	v_cmp_gt_i32_e32 vcc, s12, v11
	s_and_saveexec_b64 s[2:3], vcc
	s_cbranch_execz .LBB3_37
; %bb.1:
	v_mov_b32_e32 v1, 0
	global_load_ushort v3, v1, s[0:1] offset:48
	global_load_sbyte v6, v1, s[0:1] offset:50
	s_load_dwordx8 s[4:11], s[0:1], 0x0
	v_lshlrev_b32_e32 v4, 3, v11
	v_and_b32_e32 v12, 0x3ff, v0
	v_mov_b32_e32 v2, 0xff800000
	v_ashrrev_i32_e32 v5, 31, v4
	v_cmp_gt_u32_e64 s[2:3], 8, v12
	v_lshlrev_b32_e32 v0, 2, v12
	s_waitcnt vmcnt(1)
	v_readfirstlane_b32 s12, v3
	s_and_saveexec_b64 s[0:1], s[2:3]
	s_cbranch_execz .LBB3_3
; %bb.2:
	s_waitcnt lgkmcnt(0)
	v_mov_b32_e32 v8, s4
	v_mov_b32_e32 v9, s5
	v_lshl_add_u64 v[8:9], v[4:5], 2, v[8:9]
	v_lshl_add_u64 v[8:9], v[8:9], 0, v[0:1]
	global_load_dword v2, v[8:9], off
.LBB3_3:
	s_or_b64 exec, exec, s[0:1]
	s_waitcnt vmcnt(0)
	v_and_b32_e32 v1, 1, v6
	v_cmp_eq_u32_e64 s[0:1], 1, v1
	s_and_b64 vcc, exec, s[0:1]
	s_cbranch_vccnz .LBB3_9
; %bb.4:
	v_and_b32_e32 v1, 1, v3
	v_cmp_eq_u32_e32 vcc, 0, v1
	s_cbranch_vccz .LBB3_6
; %bb.5:
	v_mbcnt_lo_u32_b32 v3, -1, 0
	v_mbcnt_hi_u32_b32 v3, -1, v3
	v_and_b32_e32 v6, 0x60, v3
	v_add_u32_e32 v6, 32, v6
	v_xor_b32_e32 v7, 16, v3
	v_cmp_lt_i32_e32 vcc, v7, v6
	v_max_f32_e32 v1, v2, v2
	v_max_f32_e32 v1, 0xff800000, v1
	v_cndmask_b32_e32 v7, v3, v7, vcc
	v_lshlrev_b32_e32 v7, 2, v7
	ds_bpermute_b32 v8, v7, v1
	s_waitcnt lgkmcnt(0)
	s_mov_b32 s4, 0x3fb8aa3b
	v_max_f32_e32 v8, v8, v8
	v_max_f32_e32 v1, v1, v8
	v_xor_b32_e32 v8, 8, v3
	v_cmp_lt_i32_e32 vcc, v8, v6
	s_nop 1
	v_cndmask_b32_e32 v8, v3, v8, vcc
	v_lshlrev_b32_e32 v8, 2, v8
	ds_bpermute_b32 v9, v8, v1
	s_waitcnt lgkmcnt(0)
	v_max_f32_e32 v9, v9, v9
	v_max_f32_e32 v1, v1, v9
	v_xor_b32_e32 v9, 4, v3
	v_cmp_lt_i32_e32 vcc, v9, v6
	s_nop 1
	v_cndmask_b32_e32 v9, v3, v9, vcc
	v_lshlrev_b32_e32 v9, 2, v9
	ds_bpermute_b32 v10, v9, v1
	s_waitcnt lgkmcnt(0)
	v_max_f32_e32 v10, v10, v10
	v_max_f32_e32 v1, v1, v10
	v_xor_b32_e32 v10, 2, v3
	v_cmp_lt_i32_e32 vcc, v10, v6
	s_nop 1
	v_cndmask_b32_e32 v10, v3, v10, vcc
	v_lshlrev_b32_e32 v10, 2, v10
	ds_bpermute_b32 v13, v10, v1
	s_waitcnt lgkmcnt(0)
	v_max_f32_e32 v13, v13, v13
	v_max_f32_e32 v1, v1, v13
	v_xor_b32_e32 v13, 1, v3
	v_cmp_lt_i32_e32 vcc, v13, v6
	s_nop 1
	v_cndmask_b32_e32 v3, v3, v13, vcc
	v_lshlrev_b32_e32 v3, 2, v3
	ds_bpermute_b32 v6, v3, v1
	s_waitcnt lgkmcnt(0)
	v_max_f32_e32 v6, v6, v6
	v_max_f32_e32 v1, v1, v6
	v_sub_f32_e32 v1, v2, v1
	v_mul_f32_e32 v6, 0x3fb8aa3b, v1
	v_fma_f32 v13, v1, s4, -v6
	v_rndne_f32_e32 v14, v6
	v_fmamk_f32 v13, v1, 0x32a5705f, v13
	v_sub_f32_e32 v6, v6, v14
	v_add_f32_e32 v6, v6, v13
	v_exp_f32_e32 v6, v6
	v_cvt_i32_f32_e32 v13, v14
	s_mov_b32 s4, 0xc2ce8ed0
	v_cmp_ngt_f32_e32 vcc, s4, v1
	s_mov_b32 s4, 0x42b17218
	v_ldexp_f32 v6, v6, v13
	v_cndmask_b32_e32 v6, 0, v6, vcc
	v_mov_b32_e32 v13, 0x7f800000
	v_cmp_nlt_f32_e32 vcc, s4, v1
	s_nop 1
	v_cndmask_b32_e32 v1, v13, v6, vcc
	ds_bpermute_b32 v6, v7, v1
	s_waitcnt lgkmcnt(0)
	v_add_f32_e32 v6, v1, v6
	ds_bpermute_b32 v7, v8, v6
	s_waitcnt lgkmcnt(0)
	v_add_f32_e32 v6, v6, v7
	ds_bpermute_b32 v7, v9, v6
	s_waitcnt lgkmcnt(0)
	v_add_f32_e32 v6, v6, v7
	ds_bpermute_b32 v7, v10, v6
	s_waitcnt lgkmcnt(0)
	v_add_f32_e32 v6, v6, v7
	ds_bpermute_b32 v3, v3, v6
	s_waitcnt lgkmcnt(0)
	v_add_f32_e32 v3, v6, v3
	v_div_scale_f32 v6, s[4:5], v3, v3, 1.0
	v_rcp_f32_e32 v7, v6
	v_div_scale_f32 v8, vcc, 1.0, v3, 1.0
	v_fma_f32 v9, -v6, v7, 1.0
	v_fmac_f32_e32 v7, v9, v7
	v_mul_f32_e32 v9, v8, v7
	v_fma_f32 v10, -v6, v9, v8
	v_fmac_f32_e32 v9, v10, v7
	v_fma_f32 v6, -v6, v9, v8
	v_div_fmas_f32 v6, v6, v7, v9
	v_div_fixup_f32 v3, v6, v3, 1.0
	v_mul_f32_e32 v1, v1, v3
	s_cbranch_execz .LBB3_7
	s_branch .LBB3_8
.LBB3_6:
	s_waitcnt lgkmcnt(0)
                                        ; implicit-def: $vgpr1
.LBB3_7:
	v_mul_f32_e32 v1, 0xbfb8aa3b, v2
	s_mov_b32 s4, 0xbfb8aa3b
	v_rndne_f32_e32 v3, v1
	v_sub_f32_e32 v6, v1, v3
	v_fma_f32 v1, v2, s4, -v1
	v_fmamk_f32 v1, v2, 0xb2a5705f, v1
	v_add_f32_e32 v1, v6, v1
	v_exp_f32_e32 v1, v1
	v_cvt_i32_f32_e32 v3, v3
	s_mov_b32 s4, 0x42ce8ed0
	v_cmp_nlt_f32_e32 vcc, s4, v2
	s_mov_b32 s4, 0xc2b17218
	v_ldexp_f32 v1, v1, v3
	v_cndmask_b32_e32 v1, 0, v1, vcc
	v_mov_b32_e32 v3, 0x7f800000
	v_cmp_ngt_f32_e32 vcc, s4, v2
	s_nop 1
	v_cndmask_b32_e32 v1, v3, v1, vcc
	v_add_f32_e32 v1, 1.0, v1
	v_div_scale_f32 v2, s[4:5], v1, v1, 1.0
	v_rcp_f32_e32 v3, v2
	s_nop 0
	v_fma_f32 v6, -v2, v3, 1.0
	v_fmac_f32_e32 v3, v6, v3
	v_div_scale_f32 v6, vcc, 1.0, v1, 1.0
	v_mul_f32_e32 v7, v6, v3
	v_fma_f32 v8, -v2, v7, v6
	v_fmac_f32_e32 v7, v8, v3
	v_fma_f32 v2, -v2, v7, v6
	v_div_fmas_f32 v2, v2, v3, v7
	v_div_fixup_f32 v1, v2, v1, 1.0
.LBB3_8:
	v_mov_b32_e32 v2, v1
.LBB3_9:
	v_mov_b32_e32 v1, 0xff7fffff
	v_cmp_o_f32_e32 vcc, v2, v2
	v_mov_b32_e32 v3, 0xff800000
	s_nop 0
	v_cndmask_b32_e32 v2, v1, v2, vcc
	s_waitcnt lgkmcnt(0)
	s_and_saveexec_b64 s[4:5], s[2:3]
	s_cbranch_execz .LBB3_11
; %bb.10:
	global_load_dword v1, v0, s[10:11]
	s_waitcnt vmcnt(0)
	v_add_f32_e32 v3, v2, v1
.LBB3_11:
	s_or_b64 exec, exec, s[4:5]
	s_lshr_b32 s4, s12, 8
	s_cmp_gt_i32 s13, 0
	s_cbranch_scc1 .LBB3_13
; %bb.12:
	s_bitcmp1_b32 s4, 0
	s_mov_b64 s[2:3], 0
	s_cselect_b64 s[10:11], -1, 0
	s_branch .LBB3_14
.LBB3_13:
	s_mov_b64 s[2:3], -1
                                        ; implicit-def: $sgpr10_sgpr11
.LBB3_14:
	v_mov_b32_e32 v14, 0
	s_andn2_b64 vcc, exec, s[2:3]
	v_mbcnt_lo_u32_b32 v13, -1, 0
	v_mov_b32_e32 v1, 0
	s_cbranch_vccnz .LBB3_33
; %bb.15:
	v_mov_b32_e32 v6, s8
	v_mov_b32_e32 v7, s9
	v_mbcnt_hi_u32_b32 v1, -1, v13
	v_lshl_add_u64 v[4:5], v[4:5], 2, v[6:7]
	v_and_b32_e32 v6, 0x60, v1
	v_add_u32_e32 v6, 32, v6
	v_xor_b32_e32 v7, 16, v1
	v_cmp_lt_i32_e32 vcc, v7, v6
	s_bitcmp1_b32 s4, 0
	s_mov_b32 s12, 0
	v_cndmask_b32_e32 v7, v1, v7, vcc
	v_lshlrev_b32_e32 v15, 2, v7
	v_xor_b32_e32 v7, 8, v1
	v_cmp_lt_i32_e32 vcc, v7, v6
	s_cselect_b64 s[10:11], -1, 0
	v_mov_b32_e32 v14, 0
	v_cndmask_b32_e32 v7, v1, v7, vcc
	v_lshlrev_b32_e32 v16, 2, v7
	v_xor_b32_e32 v7, 4, v1
	v_cmp_lt_i32_e32 vcc, v7, v6
	v_mov_b32_e32 v20, 0xff800000
	s_nop 0
	v_cndmask_b32_e32 v7, v1, v7, vcc
	v_lshlrev_b32_e32 v17, 2, v7
	v_xor_b32_e32 v7, 2, v1
	v_cmp_lt_i32_e32 vcc, v7, v6
	s_nop 1
	v_cndmask_b32_e32 v7, v1, v7, vcc
	v_lshlrev_b32_e32 v18, 2, v7
	v_xor_b32_e32 v7, 1, v1
	v_cmp_lt_i32_e32 vcc, v7, v6
	s_nop 1
	v_cndmask_b32_e32 v1, v1, v7, vcc
	v_lshlrev_b32_e32 v19, 2, v1
	v_mov_b32_e32 v1, 0
	s_branch .LBB3_17
.LBB3_16:                               ;   in Loop: Header=BB3_17 Depth=1
	s_or_b64 exec, exec, s[2:3]
	s_and_b32 s2, s12, 31
	v_cndmask_b32_e32 v3, v3, v20, vcc
	v_cmp_eq_u32_e32 vcc, s2, v12
	s_add_i32 s12, s12, 1
	s_cmp_eq_u32 s13, s12
	v_cndmask_b32_e32 v1, v1, v6, vcc
	v_lshl_add_u64 v[4:5], v[4:5], 0, 4
	s_cbranch_scc1 .LBB3_33
.LBB3_17:                               ; =>This Inner Loop Header: Depth=1
	ds_bpermute_b32 v9, v15, v3
	ds_bpermute_b32 v10, v15, v12
	;; [unrolled: 1-line block ×3, first 2 shown]
	v_mov_b32_e32 v21, v3
	v_mov_b32_e32 v23, v2
	s_waitcnt lgkmcnt(2)
	v_cmp_eq_f32_e64 s[2:3], v3, v9
	s_waitcnt lgkmcnt(1)
	v_cmp_lt_i32_e64 s[4:5], v10, v12
	v_cmp_lt_f32_e32 vcc, v3, v9
	s_and_b64 s[2:3], s[2:3], s[4:5]
	s_or_b64 s[4:5], vcc, s[2:3]
	v_mov_b32_e32 v22, v12
	v_mov_b64_e32 v[6:7], v[2:3]
	s_and_saveexec_b64 s[2:3], s[4:5]
	s_cbranch_execz .LBB3_19
; %bb.18:                               ;   in Loop: Header=BB3_17 Depth=1
	v_mov_b32_e32 v21, v9
	s_waitcnt lgkmcnt(0)
	v_mov_b32_e32 v23, v8
	v_mov_b32_e32 v22, v10
	v_mov_b64_e32 v[6:7], v[8:9]
.LBB3_19:                               ;   in Loop: Header=BB3_17 Depth=1
	s_or_b64 exec, exec, s[2:3]
	ds_bpermute_b32 v25, v16, v21
	ds_bpermute_b32 v10, v16, v23
	;; [unrolled: 1-line block ×3, first 2 shown]
	s_waitcnt lgkmcnt(2)
	v_cmp_lt_f32_e64 s[4:5], v7, v25
	v_cmp_nlt_f32_e32 vcc, v7, v25
	s_and_saveexec_b64 s[8:9], vcc
	s_cbranch_execz .LBB3_21
; %bb.20:                               ;   in Loop: Header=BB3_17 Depth=1
	v_cmp_eq_f32_e32 vcc, v7, v25
	s_waitcnt lgkmcnt(0)
	v_cmp_lt_i32_e64 s[2:3], v24, v22
	s_and_b64 s[2:3], vcc, s[2:3]
	s_andn2_b64 s[4:5], s[4:5], exec
	s_and_b64 s[2:3], s[2:3], exec
	s_or_b64 s[4:5], s[4:5], s[2:3]
.LBB3_21:                               ;   in Loop: Header=BB3_17 Depth=1
	s_or_b64 exec, exec, s[8:9]
	v_mov_b64_e32 v[8:9], v[6:7]
	s_and_saveexec_b64 s[2:3], s[4:5]
	s_cbranch_execz .LBB3_23
; %bb.22:                               ;   in Loop: Header=BB3_17 Depth=1
	v_mov_b32_e32 v7, v25
	v_mov_b32_e32 v21, v25
	s_waitcnt lgkmcnt(1)
	v_mov_b32_e32 v23, v10
	s_waitcnt lgkmcnt(0)
	v_mov_b32_e32 v22, v24
	v_mov_b64_e32 v[8:9], v[10:11]
.LBB3_23:                               ;   in Loop: Header=BB3_17 Depth=1
	s_or_b64 exec, exec, s[2:3]
	s_waitcnt lgkmcnt(1)
	ds_bpermute_b32 v10, v17, v21
	ds_bpermute_b32 v6, v17, v23
	ds_bpermute_b32 v9, v17, v22
	s_waitcnt lgkmcnt(2)
	v_cmp_lt_f32_e64 s[4:5], v7, v10
	v_cmp_nlt_f32_e32 vcc, v7, v10
	s_and_saveexec_b64 s[8:9], vcc
	s_cbranch_execz .LBB3_25
; %bb.24:                               ;   in Loop: Header=BB3_17 Depth=1
	v_cmp_eq_f32_e32 vcc, v7, v10
	s_waitcnt lgkmcnt(0)
	v_cmp_lt_i32_e64 s[2:3], v9, v22
	s_and_b64 s[2:3], vcc, s[2:3]
	s_andn2_b64 s[4:5], s[4:5], exec
	s_and_b64 s[2:3], s[2:3], exec
	s_or_b64 s[4:5], s[4:5], s[2:3]
.LBB3_25:                               ;   in Loop: Header=BB3_17 Depth=1
	s_or_b64 exec, exec, s[8:9]
	s_and_saveexec_b64 s[2:3], s[4:5]
	s_cbranch_execz .LBB3_27
; %bb.26:                               ;   in Loop: Header=BB3_17 Depth=1
	v_mov_b32_e32 v7, v10
	v_mov_b32_e32 v21, v10
	s_waitcnt lgkmcnt(1)
	v_mov_b32_e32 v23, v6
	s_waitcnt lgkmcnt(0)
	v_mov_b32_e32 v22, v9
	v_mov_b64_e32 v[8:9], v[6:7]
.LBB3_27:                               ;   in Loop: Header=BB3_17 Depth=1
	s_or_b64 exec, exec, s[2:3]
	ds_bpermute_b32 v10, v18, v21
	s_waitcnt lgkmcnt(2)
	ds_bpermute_b32 v6, v18, v23
	s_waitcnt lgkmcnt(2)
	;; [unrolled: 2-line block ×3, first 2 shown]
	v_cmp_lt_f32_e64 s[4:5], v7, v10
	v_cmp_nlt_f32_e32 vcc, v7, v10
	s_and_saveexec_b64 s[8:9], vcc
	s_cbranch_execz .LBB3_29
; %bb.28:                               ;   in Loop: Header=BB3_17 Depth=1
	v_cmp_eq_f32_e32 vcc, v7, v10
	s_waitcnt lgkmcnt(0)
	v_cmp_lt_i32_e64 s[2:3], v9, v22
	s_and_b64 s[2:3], vcc, s[2:3]
	s_andn2_b64 s[4:5], s[4:5], exec
	s_and_b64 s[2:3], s[2:3], exec
	s_or_b64 s[4:5], s[4:5], s[2:3]
.LBB3_29:                               ;   in Loop: Header=BB3_17 Depth=1
	s_or_b64 exec, exec, s[8:9]
	s_and_saveexec_b64 s[2:3], s[4:5]
	s_cbranch_execz .LBB3_31
; %bb.30:                               ;   in Loop: Header=BB3_17 Depth=1
	v_mov_b32_e32 v7, v10
	v_mov_b32_e32 v21, v10
	s_waitcnt lgkmcnt(1)
	v_mov_b32_e32 v23, v6
	s_waitcnt lgkmcnt(0)
	v_mov_b32_e32 v22, v9
	v_mov_b64_e32 v[8:9], v[6:7]
.LBB3_31:                               ;   in Loop: Header=BB3_17 Depth=1
	s_or_b64 exec, exec, s[2:3]
	s_waitcnt lgkmcnt(1)
	ds_bpermute_b32 v6, v19, v21
	s_waitcnt lgkmcnt(1)
	ds_bpermute_b32 v9, v19, v22
	ds_bpermute_b32 v10, v19, v23
	s_waitcnt lgkmcnt(2)
	v_cmp_eq_f32_e64 s[2:3], v7, v6
	s_waitcnt lgkmcnt(1)
	v_cmp_lt_i32_e64 s[4:5], v9, v22
	v_cmp_lt_f32_e32 vcc, v7, v6
	s_and_b64 s[2:3], s[2:3], s[4:5]
	s_or_b64 vcc, vcc, s[2:3]
	v_cndmask_b32_e32 v7, v22, v9, vcc
	s_waitcnt lgkmcnt(0)
	v_cndmask_b32_e32 v6, v8, v10, vcc
	v_and_b32_e32 v8, 31, v7
	v_cmp_eq_u32_e32 vcc, v8, v12
	s_and_saveexec_b64 s[2:3], vcc
	s_cbranch_execz .LBB3_16
; %bb.32:                               ;   in Loop: Header=BB3_17 Depth=1
	v_add_f32_e32 v8, v14, v6
	v_cndmask_b32_e64 v14, v14, v8, s[10:11]
	global_store_dword v[4:5], v7, off
	s_branch .LBB3_16
.LBB3_33:
	s_and_b64 vcc, exec, s[10:11]
	s_cbranch_vccnz .LBB3_38
; %bb.34:
	s_andn2_b64 vcc, exec, s[0:1]
	v_cmp_gt_i32_e64 s[0:1], s13, v12
	s_cbranch_vccz .LBB3_39
.LBB3_35:
	v_cmp_gt_i32_e32 vcc, s13, v12
	s_and_b64 exec, exec, vcc
	s_cbranch_execz .LBB3_37
.LBB3_36:
	s_waitcnt lgkmcnt(0)
	v_mul_lo_u32 v4, v11, s13
	v_mov_b32_e32 v2, s6
	v_mov_b32_e32 v3, s7
	v_ashrrev_i32_e32 v5, 31, v4
	v_lshl_add_u64 v[2:3], v[4:5], 2, v[2:3]
	v_mul_f32_e32 v4, s15, v1
	v_mov_b32_e32 v1, 0
	v_lshl_add_u64 v[0:1], v[2:3], 0, v[0:1]
	global_store_dword v[0:1], v4, off
.LBB3_37:
	s_endpgm
.LBB3_38:
	v_mbcnt_hi_u32_b32 v2, -1, v13
	v_and_b32_e32 v3, 0x60, v2
	v_add_u32_e32 v3, 32, v3
	v_xor_b32_e32 v4, 16, v2
	v_cmp_lt_i32_e32 vcc, v4, v3
	v_xor_b32_e32 v5, 8, v2
	v_xor_b32_e32 v6, 4, v2
	v_cndmask_b32_e32 v4, v2, v4, vcc
	v_lshlrev_b32_e32 v4, 2, v4
	ds_bpermute_b32 v4, v4, v14
	v_cmp_lt_i32_e32 vcc, v5, v3
	s_waitcnt lgkmcnt(0)
	v_add_f32_e32 v4, v14, v4
	v_cndmask_b32_e32 v5, v2, v5, vcc
	v_lshlrev_b32_e32 v5, 2, v5
	ds_bpermute_b32 v5, v5, v4
	v_cmp_lt_i32_e32 vcc, v6, v3
	s_waitcnt lgkmcnt(0)
	v_add_f32_e32 v4, v4, v5
	v_cndmask_b32_e32 v5, v2, v6, vcc
	v_lshlrev_b32_e32 v5, 2, v5
	ds_bpermute_b32 v5, v5, v4
	v_xor_b32_e32 v6, 2, v2
	v_cmp_lt_i32_e32 vcc, v6, v3
	s_waitcnt lgkmcnt(0)
	v_add_f32_e32 v4, v4, v5
	v_cndmask_b32_e32 v5, v2, v6, vcc
	v_lshlrev_b32_e32 v5, 2, v5
	ds_bpermute_b32 v5, v5, v4
	v_xor_b32_e32 v6, 1, v2
	v_cmp_lt_i32_e32 vcc, v6, v3
	v_max_f32_e64 v3, s14, s14
	s_waitcnt lgkmcnt(0)
	v_add_f32_e32 v4, v4, v5
	v_cndmask_b32_e32 v2, v2, v6, vcc
	v_lshlrev_b32_e32 v2, 2, v2
	ds_bpermute_b32 v2, v2, v4
	s_waitcnt lgkmcnt(0)
	v_add_f32_e32 v2, v4, v2
	v_max_f32_e32 v2, v2, v3
	v_div_scale_f32 v3, s[2:3], v2, v2, 1.0
	v_rcp_f32_e32 v4, v3
	v_div_scale_f32 v5, vcc, 1.0, v2, 1.0
	v_fma_f32 v6, -v3, v4, 1.0
	v_fmac_f32_e32 v4, v6, v4
	v_mul_f32_e32 v6, v5, v4
	v_fma_f32 v7, -v3, v6, v5
	v_fmac_f32_e32 v6, v7, v4
	v_fma_f32 v3, -v3, v6, v5
	v_div_fmas_f32 v3, v3, v4, v6
	v_div_fixup_f32 v2, v3, v2, 1.0
	v_mul_f32_e32 v1, v2, v1
	s_andn2_b64 vcc, exec, s[0:1]
	v_cmp_gt_i32_e64 s[0:1], s13, v12
	s_cbranch_vccnz .LBB3_35
.LBB3_39:
	v_max_f32_e32 v2, v1, v1
	v_max_f32_e32 v2, 0xff800000, v2
	v_mov_b32_e32 v3, 0xff800000
	v_cndmask_b32_e64 v2, v3, v2, s[0:1]
	v_mbcnt_hi_u32_b32 v3, -1, v13
	v_and_b32_e32 v4, 0x60, v3
	v_add_u32_e32 v4, 32, v4
	v_xor_b32_e32 v5, 16, v3
	v_cmp_lt_i32_e32 vcc, v5, v4
	s_mov_b32 s2, 0x3fb8aa3b
	s_nop 0
	v_cndmask_b32_e32 v5, v3, v5, vcc
	v_lshlrev_b32_e32 v5, 2, v5
	ds_bpermute_b32 v6, v5, v2
	s_waitcnt lgkmcnt(0)
	v_max_f32_e32 v6, v6, v6
	v_max_f32_e32 v2, v2, v6
	v_xor_b32_e32 v6, 8, v3
	v_cmp_lt_i32_e32 vcc, v6, v4
	s_nop 1
	v_cndmask_b32_e32 v6, v3, v6, vcc
	v_lshlrev_b32_e32 v6, 2, v6
	ds_bpermute_b32 v7, v6, v2
	s_waitcnt lgkmcnt(0)
	v_max_f32_e32 v7, v7, v7
	v_max_f32_e32 v2, v2, v7
	v_xor_b32_e32 v7, 4, v3
	v_cmp_lt_i32_e32 vcc, v7, v4
	;; [unrolled: 9-line block ×4, first 2 shown]
	s_nop 1
	v_cndmask_b32_e32 v3, v3, v9, vcc
	v_lshlrev_b32_e32 v4, 2, v3
	ds_bpermute_b32 v3, v4, v2
	s_waitcnt lgkmcnt(0)
	v_max_f32_e32 v3, v3, v3
	v_max_f32_e32 v2, v2, v3
	v_sub_f32_e32 v1, v1, v2
	v_mul_f32_e32 v2, 0x3fb8aa3b, v1
	v_fma_f32 v3, v1, s2, -v2
	v_rndne_f32_e32 v9, v2
	v_fmamk_f32 v3, v1, 0x32a5705f, v3
	v_sub_f32_e32 v2, v2, v9
	v_add_f32_e32 v2, v2, v3
	v_exp_f32_e32 v2, v2
	v_cvt_i32_f32_e32 v3, v9
	s_mov_b32 s2, 0xc2ce8ed0
	v_cmp_ngt_f32_e32 vcc, s2, v1
	s_mov_b32 s2, 0x42b17218
	v_ldexp_f32 v2, v2, v3
	v_cndmask_b32_e32 v2, 0, v2, vcc
	v_mov_b32_e32 v3, 0x7f800000
	v_cmp_nlt_f32_e32 vcc, s2, v1
	s_nop 1
	v_cndmask_b32_e32 v2, v3, v2, vcc
	v_cndmask_b32_e64 v1, 0, v2, s[0:1]
	ds_bpermute_b32 v3, v5, v1
	s_waitcnt lgkmcnt(0)
	v_add_f32_e32 v1, v1, v3
	ds_bpermute_b32 v3, v6, v1
	s_waitcnt lgkmcnt(0)
	v_add_f32_e32 v1, v1, v3
	;; [unrolled: 3-line block ×4, first 2 shown]
	ds_bpermute_b32 v4, v4, v3
	v_mov_b32_e32 v1, 0
	s_and_saveexec_b64 s[2:3], s[0:1]
	s_cbranch_execz .LBB3_41
; %bb.40:
	s_waitcnt lgkmcnt(0)
	v_add_f32_e32 v1, v3, v4
	v_div_scale_f32 v3, s[0:1], v1, v1, 1.0
	v_rcp_f32_e32 v4, v3
	v_div_scale_f32 v5, vcc, 1.0, v1, 1.0
	v_fma_f32 v6, -v3, v4, 1.0
	v_fmac_f32_e32 v4, v6, v4
	v_mul_f32_e32 v6, v5, v4
	v_fma_f32 v7, -v3, v6, v5
	v_fmac_f32_e32 v6, v7, v4
	v_fma_f32 v3, -v3, v6, v5
	v_div_fmas_f32 v3, v3, v4, v6
	v_div_fixup_f32 v1, v3, v1, 1.0
	v_mul_f32_e32 v1, v2, v1
.LBB3_41:
	s_or_b64 exec, exec, s[2:3]
	v_cmp_gt_i32_e32 vcc, s13, v12
	s_and_b64 exec, exec, vcc
	s_cbranch_execnz .LBB3_36
	s_branch .LBB3_37
	.section	.rodata,"a",@progbits
	.p2align	6, 0x0
	.amdhsa_kernel _Z13topk_moe_cudaILi8ELb1EEvPKfPfPiS2_iiff15topk_moe_config
		.amdhsa_group_segment_fixed_size 0
		.amdhsa_private_segment_fixed_size 0
		.amdhsa_kernarg_size 312
		.amdhsa_user_sgpr_count 2
		.amdhsa_user_sgpr_dispatch_ptr 0
		.amdhsa_user_sgpr_queue_ptr 0
		.amdhsa_user_sgpr_kernarg_segment_ptr 1
		.amdhsa_user_sgpr_dispatch_id 0
		.amdhsa_user_sgpr_kernarg_preload_length 0
		.amdhsa_user_sgpr_kernarg_preload_offset 0
		.amdhsa_user_sgpr_private_segment_size 0
		.amdhsa_uses_dynamic_stack 0
		.amdhsa_enable_private_segment 0
		.amdhsa_system_sgpr_workgroup_id_x 1
		.amdhsa_system_sgpr_workgroup_id_y 0
		.amdhsa_system_sgpr_workgroup_id_z 0
		.amdhsa_system_sgpr_workgroup_info 0
		.amdhsa_system_vgpr_workitem_id 1
		.amdhsa_next_free_vgpr 26
		.amdhsa_next_free_sgpr 16
		.amdhsa_accum_offset 28
		.amdhsa_reserve_vcc 1
		.amdhsa_float_round_mode_32 0
		.amdhsa_float_round_mode_16_64 0
		.amdhsa_float_denorm_mode_32 3
		.amdhsa_float_denorm_mode_16_64 3
		.amdhsa_dx10_clamp 1
		.amdhsa_ieee_mode 1
		.amdhsa_fp16_overflow 0
		.amdhsa_tg_split 0
		.amdhsa_exception_fp_ieee_invalid_op 0
		.amdhsa_exception_fp_denorm_src 0
		.amdhsa_exception_fp_ieee_div_zero 0
		.amdhsa_exception_fp_ieee_overflow 0
		.amdhsa_exception_fp_ieee_underflow 0
		.amdhsa_exception_fp_ieee_inexact 0
		.amdhsa_exception_int_div_zero 0
	.end_amdhsa_kernel
	.section	.text._Z13topk_moe_cudaILi8ELb1EEvPKfPfPiS2_iiff15topk_moe_config,"axG",@progbits,_Z13topk_moe_cudaILi8ELb1EEvPKfPfPiS2_iiff15topk_moe_config,comdat
.Lfunc_end3:
	.size	_Z13topk_moe_cudaILi8ELb1EEvPKfPfPiS2_iiff15topk_moe_config, .Lfunc_end3-_Z13topk_moe_cudaILi8ELb1EEvPKfPfPiS2_iiff15topk_moe_config
                                        ; -- End function
	.set _Z13topk_moe_cudaILi8ELb1EEvPKfPfPiS2_iiff15topk_moe_config.num_vgpr, 26
	.set _Z13topk_moe_cudaILi8ELb1EEvPKfPfPiS2_iiff15topk_moe_config.num_agpr, 0
	.set _Z13topk_moe_cudaILi8ELb1EEvPKfPfPiS2_iiff15topk_moe_config.numbered_sgpr, 16
	.set _Z13topk_moe_cudaILi8ELb1EEvPKfPfPiS2_iiff15topk_moe_config.num_named_barrier, 0
	.set _Z13topk_moe_cudaILi8ELb1EEvPKfPfPiS2_iiff15topk_moe_config.private_seg_size, 0
	.set _Z13topk_moe_cudaILi8ELb1EEvPKfPfPiS2_iiff15topk_moe_config.uses_vcc, 1
	.set _Z13topk_moe_cudaILi8ELb1EEvPKfPfPiS2_iiff15topk_moe_config.uses_flat_scratch, 0
	.set _Z13topk_moe_cudaILi8ELb1EEvPKfPfPiS2_iiff15topk_moe_config.has_dyn_sized_stack, 0
	.set _Z13topk_moe_cudaILi8ELb1EEvPKfPfPiS2_iiff15topk_moe_config.has_recursion, 0
	.set _Z13topk_moe_cudaILi8ELb1EEvPKfPfPiS2_iiff15topk_moe_config.has_indirect_call, 0
	.section	.AMDGPU.csdata,"",@progbits
; Kernel info:
; codeLenInByte = 2772
; TotalNumSgprs: 22
; NumVgprs: 26
; NumAgprs: 0
; TotalNumVgprs: 26
; ScratchSize: 0
; MemoryBound: 0
; FloatMode: 240
; IeeeMode: 1
; LDSByteSize: 0 bytes/workgroup (compile time only)
; SGPRBlocks: 2
; VGPRBlocks: 3
; NumSGPRsForWavesPerEU: 22
; NumVGPRsForWavesPerEU: 26
; AccumOffset: 28
; Occupancy: 8
; WaveLimiterHint : 0
; COMPUTE_PGM_RSRC2:SCRATCH_EN: 0
; COMPUTE_PGM_RSRC2:USER_SGPR: 2
; COMPUTE_PGM_RSRC2:TRAP_HANDLER: 0
; COMPUTE_PGM_RSRC2:TGID_X_EN: 1
; COMPUTE_PGM_RSRC2:TGID_Y_EN: 0
; COMPUTE_PGM_RSRC2:TGID_Z_EN: 0
; COMPUTE_PGM_RSRC2:TIDIG_COMP_CNT: 1
; COMPUTE_PGM_RSRC3_GFX90A:ACCUM_OFFSET: 6
; COMPUTE_PGM_RSRC3_GFX90A:TG_SPLIT: 0
	.section	.text._Z13topk_moe_cudaILi16ELb1EEvPKfPfPiS2_iiff15topk_moe_config,"axG",@progbits,_Z13topk_moe_cudaILi16ELb1EEvPKfPfPiS2_iiff15topk_moe_config,comdat
	.protected	_Z13topk_moe_cudaILi16ELb1EEvPKfPfPiS2_iiff15topk_moe_config ; -- Begin function _Z13topk_moe_cudaILi16ELb1EEvPKfPfPiS2_iiff15topk_moe_config
	.globl	_Z13topk_moe_cudaILi16ELb1EEvPKfPfPiS2_iiff15topk_moe_config
	.p2align	8
	.type	_Z13topk_moe_cudaILi16ELb1EEvPKfPfPiS2_iiff15topk_moe_config,@function
_Z13topk_moe_cudaILi16ELb1EEvPKfPfPiS2_iiff15topk_moe_config: ; @_Z13topk_moe_cudaILi16ELb1EEvPKfPfPiS2_iiff15topk_moe_config
; %bb.0:
	s_load_dword s3, s[0:1], 0x44
	s_load_dwordx4 s[12:15], s[0:1], 0x20
	v_bfe_u32 v1, v0, 10, 10
	s_waitcnt lgkmcnt(0)
	s_lshr_b32 s3, s3, 16
	s_mul_i32 s2, s2, s3
	v_add_u32_e32 v11, s2, v1
	v_cmp_gt_i32_e32 vcc, s12, v11
	s_and_saveexec_b64 s[2:3], vcc
	s_cbranch_execz .LBB4_37
; %bb.1:
	v_mov_b32_e32 v1, 0
	global_load_ushort v3, v1, s[0:1] offset:48
	global_load_sbyte v6, v1, s[0:1] offset:50
	s_load_dwordx8 s[4:11], s[0:1], 0x0
	v_lshlrev_b32_e32 v4, 4, v11
	v_and_b32_e32 v12, 0x3ff, v0
	v_mov_b32_e32 v2, 0xff800000
	v_ashrrev_i32_e32 v5, 31, v4
	v_cmp_gt_u32_e64 s[2:3], 16, v12
	v_lshlrev_b32_e32 v0, 2, v12
	s_waitcnt vmcnt(1)
	v_readfirstlane_b32 s12, v3
	s_and_saveexec_b64 s[0:1], s[2:3]
	s_cbranch_execz .LBB4_3
; %bb.2:
	s_waitcnt lgkmcnt(0)
	v_mov_b32_e32 v8, s4
	v_mov_b32_e32 v9, s5
	v_lshl_add_u64 v[8:9], v[4:5], 2, v[8:9]
	v_lshl_add_u64 v[8:9], v[8:9], 0, v[0:1]
	global_load_dword v2, v[8:9], off
.LBB4_3:
	s_or_b64 exec, exec, s[0:1]
	s_waitcnt vmcnt(0)
	v_and_b32_e32 v1, 1, v6
	v_cmp_eq_u32_e64 s[0:1], 1, v1
	s_and_b64 vcc, exec, s[0:1]
	s_cbranch_vccnz .LBB4_9
; %bb.4:
	v_and_b32_e32 v1, 1, v3
	v_cmp_eq_u32_e32 vcc, 0, v1
	s_cbranch_vccz .LBB4_6
; %bb.5:
	v_mbcnt_lo_u32_b32 v3, -1, 0
	v_mbcnt_hi_u32_b32 v3, -1, v3
	v_and_b32_e32 v6, 0x60, v3
	v_add_u32_e32 v6, 32, v6
	v_xor_b32_e32 v7, 16, v3
	v_cmp_lt_i32_e32 vcc, v7, v6
	v_max_f32_e32 v1, v2, v2
	v_max_f32_e32 v1, 0xff800000, v1
	v_cndmask_b32_e32 v7, v3, v7, vcc
	v_lshlrev_b32_e32 v7, 2, v7
	ds_bpermute_b32 v8, v7, v1
	s_waitcnt lgkmcnt(0)
	s_mov_b32 s4, 0x3fb8aa3b
	v_max_f32_e32 v8, v8, v8
	v_max_f32_e32 v1, v1, v8
	v_xor_b32_e32 v8, 8, v3
	v_cmp_lt_i32_e32 vcc, v8, v6
	s_nop 1
	v_cndmask_b32_e32 v8, v3, v8, vcc
	v_lshlrev_b32_e32 v8, 2, v8
	ds_bpermute_b32 v9, v8, v1
	s_waitcnt lgkmcnt(0)
	v_max_f32_e32 v9, v9, v9
	v_max_f32_e32 v1, v1, v9
	v_xor_b32_e32 v9, 4, v3
	v_cmp_lt_i32_e32 vcc, v9, v6
	s_nop 1
	v_cndmask_b32_e32 v9, v3, v9, vcc
	v_lshlrev_b32_e32 v9, 2, v9
	ds_bpermute_b32 v10, v9, v1
	s_waitcnt lgkmcnt(0)
	;; [unrolled: 9-line block ×4, first 2 shown]
	v_max_f32_e32 v6, v6, v6
	v_max_f32_e32 v1, v1, v6
	v_sub_f32_e32 v1, v2, v1
	v_mul_f32_e32 v6, 0x3fb8aa3b, v1
	v_fma_f32 v13, v1, s4, -v6
	v_rndne_f32_e32 v14, v6
	v_fmamk_f32 v13, v1, 0x32a5705f, v13
	v_sub_f32_e32 v6, v6, v14
	v_add_f32_e32 v6, v6, v13
	v_exp_f32_e32 v6, v6
	v_cvt_i32_f32_e32 v13, v14
	s_mov_b32 s4, 0xc2ce8ed0
	v_cmp_ngt_f32_e32 vcc, s4, v1
	s_mov_b32 s4, 0x42b17218
	v_ldexp_f32 v6, v6, v13
	v_cndmask_b32_e32 v6, 0, v6, vcc
	v_mov_b32_e32 v13, 0x7f800000
	v_cmp_nlt_f32_e32 vcc, s4, v1
	s_nop 1
	v_cndmask_b32_e32 v1, v13, v6, vcc
	ds_bpermute_b32 v6, v7, v1
	s_waitcnt lgkmcnt(0)
	v_add_f32_e32 v6, v1, v6
	ds_bpermute_b32 v7, v8, v6
	s_waitcnt lgkmcnt(0)
	v_add_f32_e32 v6, v6, v7
	;; [unrolled: 3-line block ×5, first 2 shown]
	v_div_scale_f32 v6, s[4:5], v3, v3, 1.0
	v_rcp_f32_e32 v7, v6
	v_div_scale_f32 v8, vcc, 1.0, v3, 1.0
	v_fma_f32 v9, -v6, v7, 1.0
	v_fmac_f32_e32 v7, v9, v7
	v_mul_f32_e32 v9, v8, v7
	v_fma_f32 v10, -v6, v9, v8
	v_fmac_f32_e32 v9, v10, v7
	v_fma_f32 v6, -v6, v9, v8
	v_div_fmas_f32 v6, v6, v7, v9
	v_div_fixup_f32 v3, v6, v3, 1.0
	v_mul_f32_e32 v1, v1, v3
	s_cbranch_execz .LBB4_7
	s_branch .LBB4_8
.LBB4_6:
	s_waitcnt lgkmcnt(0)
                                        ; implicit-def: $vgpr1
.LBB4_7:
	v_mul_f32_e32 v1, 0xbfb8aa3b, v2
	s_mov_b32 s4, 0xbfb8aa3b
	v_rndne_f32_e32 v3, v1
	v_sub_f32_e32 v6, v1, v3
	v_fma_f32 v1, v2, s4, -v1
	v_fmamk_f32 v1, v2, 0xb2a5705f, v1
	v_add_f32_e32 v1, v6, v1
	v_exp_f32_e32 v1, v1
	v_cvt_i32_f32_e32 v3, v3
	s_mov_b32 s4, 0x42ce8ed0
	v_cmp_nlt_f32_e32 vcc, s4, v2
	s_mov_b32 s4, 0xc2b17218
	v_ldexp_f32 v1, v1, v3
	v_cndmask_b32_e32 v1, 0, v1, vcc
	v_mov_b32_e32 v3, 0x7f800000
	v_cmp_ngt_f32_e32 vcc, s4, v2
	s_nop 1
	v_cndmask_b32_e32 v1, v3, v1, vcc
	v_add_f32_e32 v1, 1.0, v1
	v_div_scale_f32 v2, s[4:5], v1, v1, 1.0
	v_rcp_f32_e32 v3, v2
	s_nop 0
	v_fma_f32 v6, -v2, v3, 1.0
	v_fmac_f32_e32 v3, v6, v3
	v_div_scale_f32 v6, vcc, 1.0, v1, 1.0
	v_mul_f32_e32 v7, v6, v3
	v_fma_f32 v8, -v2, v7, v6
	v_fmac_f32_e32 v7, v8, v3
	v_fma_f32 v2, -v2, v7, v6
	v_div_fmas_f32 v2, v2, v3, v7
	v_div_fixup_f32 v1, v2, v1, 1.0
.LBB4_8:
	v_mov_b32_e32 v2, v1
.LBB4_9:
	v_mov_b32_e32 v1, 0xff7fffff
	v_cmp_o_f32_e32 vcc, v2, v2
	v_mov_b32_e32 v3, 0xff800000
	s_nop 0
	v_cndmask_b32_e32 v2, v1, v2, vcc
	s_waitcnt lgkmcnt(0)
	s_and_saveexec_b64 s[4:5], s[2:3]
	s_cbranch_execz .LBB4_11
; %bb.10:
	global_load_dword v1, v0, s[10:11]
	s_waitcnt vmcnt(0)
	v_add_f32_e32 v3, v2, v1
.LBB4_11:
	s_or_b64 exec, exec, s[4:5]
	s_lshr_b32 s4, s12, 8
	s_cmp_gt_i32 s13, 0
	s_cbranch_scc1 .LBB4_13
; %bb.12:
	s_bitcmp1_b32 s4, 0
	s_mov_b64 s[2:3], 0
	s_cselect_b64 s[10:11], -1, 0
	s_branch .LBB4_14
.LBB4_13:
	s_mov_b64 s[2:3], -1
                                        ; implicit-def: $sgpr10_sgpr11
.LBB4_14:
	v_mov_b32_e32 v14, 0
	s_andn2_b64 vcc, exec, s[2:3]
	v_mbcnt_lo_u32_b32 v13, -1, 0
	v_mov_b32_e32 v1, 0
	s_cbranch_vccnz .LBB4_33
; %bb.15:
	v_mov_b32_e32 v6, s8
	v_mov_b32_e32 v7, s9
	v_mbcnt_hi_u32_b32 v1, -1, v13
	v_lshl_add_u64 v[4:5], v[4:5], 2, v[6:7]
	v_and_b32_e32 v6, 0x60, v1
	v_add_u32_e32 v6, 32, v6
	v_xor_b32_e32 v7, 16, v1
	v_cmp_lt_i32_e32 vcc, v7, v6
	s_bitcmp1_b32 s4, 0
	s_mov_b32 s12, 0
	v_cndmask_b32_e32 v7, v1, v7, vcc
	v_lshlrev_b32_e32 v15, 2, v7
	v_xor_b32_e32 v7, 8, v1
	v_cmp_lt_i32_e32 vcc, v7, v6
	s_cselect_b64 s[10:11], -1, 0
	v_mov_b32_e32 v14, 0
	v_cndmask_b32_e32 v7, v1, v7, vcc
	v_lshlrev_b32_e32 v16, 2, v7
	v_xor_b32_e32 v7, 4, v1
	v_cmp_lt_i32_e32 vcc, v7, v6
	v_mov_b32_e32 v20, 0xff800000
	s_nop 0
	v_cndmask_b32_e32 v7, v1, v7, vcc
	v_lshlrev_b32_e32 v17, 2, v7
	v_xor_b32_e32 v7, 2, v1
	v_cmp_lt_i32_e32 vcc, v7, v6
	s_nop 1
	v_cndmask_b32_e32 v7, v1, v7, vcc
	v_lshlrev_b32_e32 v18, 2, v7
	v_xor_b32_e32 v7, 1, v1
	v_cmp_lt_i32_e32 vcc, v7, v6
	s_nop 1
	v_cndmask_b32_e32 v1, v1, v7, vcc
	v_lshlrev_b32_e32 v19, 2, v1
	v_mov_b32_e32 v1, 0
	s_branch .LBB4_17
.LBB4_16:                               ;   in Loop: Header=BB4_17 Depth=1
	s_or_b64 exec, exec, s[2:3]
	s_and_b32 s2, s12, 31
	v_cndmask_b32_e32 v3, v3, v20, vcc
	v_cmp_eq_u32_e32 vcc, s2, v12
	s_add_i32 s12, s12, 1
	s_cmp_eq_u32 s13, s12
	v_cndmask_b32_e32 v1, v1, v6, vcc
	v_lshl_add_u64 v[4:5], v[4:5], 0, 4
	s_cbranch_scc1 .LBB4_33
.LBB4_17:                               ; =>This Inner Loop Header: Depth=1
	ds_bpermute_b32 v9, v15, v3
	ds_bpermute_b32 v10, v15, v12
	;; [unrolled: 1-line block ×3, first 2 shown]
	v_mov_b32_e32 v21, v3
	v_mov_b32_e32 v23, v2
	s_waitcnt lgkmcnt(2)
	v_cmp_eq_f32_e64 s[2:3], v3, v9
	s_waitcnt lgkmcnt(1)
	v_cmp_lt_i32_e64 s[4:5], v10, v12
	v_cmp_lt_f32_e32 vcc, v3, v9
	s_and_b64 s[2:3], s[2:3], s[4:5]
	s_or_b64 s[4:5], vcc, s[2:3]
	v_mov_b32_e32 v22, v12
	v_mov_b64_e32 v[6:7], v[2:3]
	s_and_saveexec_b64 s[2:3], s[4:5]
	s_cbranch_execz .LBB4_19
; %bb.18:                               ;   in Loop: Header=BB4_17 Depth=1
	v_mov_b32_e32 v21, v9
	s_waitcnt lgkmcnt(0)
	v_mov_b32_e32 v23, v8
	v_mov_b32_e32 v22, v10
	v_mov_b64_e32 v[6:7], v[8:9]
.LBB4_19:                               ;   in Loop: Header=BB4_17 Depth=1
	s_or_b64 exec, exec, s[2:3]
	ds_bpermute_b32 v25, v16, v21
	ds_bpermute_b32 v10, v16, v23
	;; [unrolled: 1-line block ×3, first 2 shown]
	s_waitcnt lgkmcnt(2)
	v_cmp_lt_f32_e64 s[4:5], v7, v25
	v_cmp_nlt_f32_e32 vcc, v7, v25
	s_and_saveexec_b64 s[8:9], vcc
	s_cbranch_execz .LBB4_21
; %bb.20:                               ;   in Loop: Header=BB4_17 Depth=1
	v_cmp_eq_f32_e32 vcc, v7, v25
	s_waitcnt lgkmcnt(0)
	v_cmp_lt_i32_e64 s[2:3], v24, v22
	s_and_b64 s[2:3], vcc, s[2:3]
	s_andn2_b64 s[4:5], s[4:5], exec
	s_and_b64 s[2:3], s[2:3], exec
	s_or_b64 s[4:5], s[4:5], s[2:3]
.LBB4_21:                               ;   in Loop: Header=BB4_17 Depth=1
	s_or_b64 exec, exec, s[8:9]
	v_mov_b64_e32 v[8:9], v[6:7]
	s_and_saveexec_b64 s[2:3], s[4:5]
	s_cbranch_execz .LBB4_23
; %bb.22:                               ;   in Loop: Header=BB4_17 Depth=1
	v_mov_b32_e32 v7, v25
	v_mov_b32_e32 v21, v25
	s_waitcnt lgkmcnt(1)
	v_mov_b32_e32 v23, v10
	s_waitcnt lgkmcnt(0)
	v_mov_b32_e32 v22, v24
	v_mov_b64_e32 v[8:9], v[10:11]
.LBB4_23:                               ;   in Loop: Header=BB4_17 Depth=1
	s_or_b64 exec, exec, s[2:3]
	s_waitcnt lgkmcnt(1)
	ds_bpermute_b32 v10, v17, v21
	ds_bpermute_b32 v6, v17, v23
	;; [unrolled: 1-line block ×3, first 2 shown]
	s_waitcnt lgkmcnt(2)
	v_cmp_lt_f32_e64 s[4:5], v7, v10
	v_cmp_nlt_f32_e32 vcc, v7, v10
	s_and_saveexec_b64 s[8:9], vcc
	s_cbranch_execz .LBB4_25
; %bb.24:                               ;   in Loop: Header=BB4_17 Depth=1
	v_cmp_eq_f32_e32 vcc, v7, v10
	s_waitcnt lgkmcnt(0)
	v_cmp_lt_i32_e64 s[2:3], v9, v22
	s_and_b64 s[2:3], vcc, s[2:3]
	s_andn2_b64 s[4:5], s[4:5], exec
	s_and_b64 s[2:3], s[2:3], exec
	s_or_b64 s[4:5], s[4:5], s[2:3]
.LBB4_25:                               ;   in Loop: Header=BB4_17 Depth=1
	s_or_b64 exec, exec, s[8:9]
	s_and_saveexec_b64 s[2:3], s[4:5]
	s_cbranch_execz .LBB4_27
; %bb.26:                               ;   in Loop: Header=BB4_17 Depth=1
	v_mov_b32_e32 v7, v10
	v_mov_b32_e32 v21, v10
	s_waitcnt lgkmcnt(1)
	v_mov_b32_e32 v23, v6
	s_waitcnt lgkmcnt(0)
	v_mov_b32_e32 v22, v9
	v_mov_b64_e32 v[8:9], v[6:7]
.LBB4_27:                               ;   in Loop: Header=BB4_17 Depth=1
	s_or_b64 exec, exec, s[2:3]
	ds_bpermute_b32 v10, v18, v21
	s_waitcnt lgkmcnt(2)
	ds_bpermute_b32 v6, v18, v23
	s_waitcnt lgkmcnt(2)
	;; [unrolled: 2-line block ×3, first 2 shown]
	v_cmp_lt_f32_e64 s[4:5], v7, v10
	v_cmp_nlt_f32_e32 vcc, v7, v10
	s_and_saveexec_b64 s[8:9], vcc
	s_cbranch_execz .LBB4_29
; %bb.28:                               ;   in Loop: Header=BB4_17 Depth=1
	v_cmp_eq_f32_e32 vcc, v7, v10
	s_waitcnt lgkmcnt(0)
	v_cmp_lt_i32_e64 s[2:3], v9, v22
	s_and_b64 s[2:3], vcc, s[2:3]
	s_andn2_b64 s[4:5], s[4:5], exec
	s_and_b64 s[2:3], s[2:3], exec
	s_or_b64 s[4:5], s[4:5], s[2:3]
.LBB4_29:                               ;   in Loop: Header=BB4_17 Depth=1
	s_or_b64 exec, exec, s[8:9]
	s_and_saveexec_b64 s[2:3], s[4:5]
	s_cbranch_execz .LBB4_31
; %bb.30:                               ;   in Loop: Header=BB4_17 Depth=1
	v_mov_b32_e32 v7, v10
	v_mov_b32_e32 v21, v10
	s_waitcnt lgkmcnt(1)
	v_mov_b32_e32 v23, v6
	s_waitcnt lgkmcnt(0)
	v_mov_b32_e32 v22, v9
	v_mov_b64_e32 v[8:9], v[6:7]
.LBB4_31:                               ;   in Loop: Header=BB4_17 Depth=1
	s_or_b64 exec, exec, s[2:3]
	s_waitcnt lgkmcnt(1)
	ds_bpermute_b32 v6, v19, v21
	s_waitcnt lgkmcnt(1)
	ds_bpermute_b32 v9, v19, v22
	ds_bpermute_b32 v10, v19, v23
	s_waitcnt lgkmcnt(2)
	v_cmp_eq_f32_e64 s[2:3], v7, v6
	s_waitcnt lgkmcnt(1)
	v_cmp_lt_i32_e64 s[4:5], v9, v22
	v_cmp_lt_f32_e32 vcc, v7, v6
	s_and_b64 s[2:3], s[2:3], s[4:5]
	s_or_b64 vcc, vcc, s[2:3]
	v_cndmask_b32_e32 v7, v22, v9, vcc
	s_waitcnt lgkmcnt(0)
	v_cndmask_b32_e32 v6, v8, v10, vcc
	v_and_b32_e32 v8, 31, v7
	v_cmp_eq_u32_e32 vcc, v8, v12
	s_and_saveexec_b64 s[2:3], vcc
	s_cbranch_execz .LBB4_16
; %bb.32:                               ;   in Loop: Header=BB4_17 Depth=1
	v_add_f32_e32 v8, v14, v6
	v_cndmask_b32_e64 v14, v14, v8, s[10:11]
	global_store_dword v[4:5], v7, off
	s_branch .LBB4_16
.LBB4_33:
	s_and_b64 vcc, exec, s[10:11]
	s_cbranch_vccnz .LBB4_38
; %bb.34:
	s_andn2_b64 vcc, exec, s[0:1]
	v_cmp_gt_i32_e64 s[0:1], s13, v12
	s_cbranch_vccz .LBB4_39
.LBB4_35:
	v_cmp_gt_i32_e32 vcc, s13, v12
	s_and_b64 exec, exec, vcc
	s_cbranch_execz .LBB4_37
.LBB4_36:
	s_waitcnt lgkmcnt(0)
	v_mul_lo_u32 v4, v11, s13
	v_mov_b32_e32 v2, s6
	v_mov_b32_e32 v3, s7
	v_ashrrev_i32_e32 v5, 31, v4
	v_lshl_add_u64 v[2:3], v[4:5], 2, v[2:3]
	v_mul_f32_e32 v4, s15, v1
	v_mov_b32_e32 v1, 0
	v_lshl_add_u64 v[0:1], v[2:3], 0, v[0:1]
	global_store_dword v[0:1], v4, off
.LBB4_37:
	s_endpgm
.LBB4_38:
	v_mbcnt_hi_u32_b32 v2, -1, v13
	v_and_b32_e32 v3, 0x60, v2
	v_add_u32_e32 v3, 32, v3
	v_xor_b32_e32 v4, 16, v2
	v_cmp_lt_i32_e32 vcc, v4, v3
	v_xor_b32_e32 v5, 8, v2
	v_xor_b32_e32 v6, 4, v2
	v_cndmask_b32_e32 v4, v2, v4, vcc
	v_lshlrev_b32_e32 v4, 2, v4
	ds_bpermute_b32 v4, v4, v14
	v_cmp_lt_i32_e32 vcc, v5, v3
	s_waitcnt lgkmcnt(0)
	v_add_f32_e32 v4, v14, v4
	v_cndmask_b32_e32 v5, v2, v5, vcc
	v_lshlrev_b32_e32 v5, 2, v5
	ds_bpermute_b32 v5, v5, v4
	v_cmp_lt_i32_e32 vcc, v6, v3
	s_waitcnt lgkmcnt(0)
	v_add_f32_e32 v4, v4, v5
	v_cndmask_b32_e32 v5, v2, v6, vcc
	v_lshlrev_b32_e32 v5, 2, v5
	ds_bpermute_b32 v5, v5, v4
	v_xor_b32_e32 v6, 2, v2
	v_cmp_lt_i32_e32 vcc, v6, v3
	s_waitcnt lgkmcnt(0)
	v_add_f32_e32 v4, v4, v5
	v_cndmask_b32_e32 v5, v2, v6, vcc
	v_lshlrev_b32_e32 v5, 2, v5
	ds_bpermute_b32 v5, v5, v4
	v_xor_b32_e32 v6, 1, v2
	v_cmp_lt_i32_e32 vcc, v6, v3
	v_max_f32_e64 v3, s14, s14
	s_waitcnt lgkmcnt(0)
	v_add_f32_e32 v4, v4, v5
	v_cndmask_b32_e32 v2, v2, v6, vcc
	v_lshlrev_b32_e32 v2, 2, v2
	ds_bpermute_b32 v2, v2, v4
	s_waitcnt lgkmcnt(0)
	v_add_f32_e32 v2, v4, v2
	v_max_f32_e32 v2, v2, v3
	v_div_scale_f32 v3, s[2:3], v2, v2, 1.0
	v_rcp_f32_e32 v4, v3
	v_div_scale_f32 v5, vcc, 1.0, v2, 1.0
	v_fma_f32 v6, -v3, v4, 1.0
	v_fmac_f32_e32 v4, v6, v4
	v_mul_f32_e32 v6, v5, v4
	v_fma_f32 v7, -v3, v6, v5
	v_fmac_f32_e32 v6, v7, v4
	v_fma_f32 v3, -v3, v6, v5
	v_div_fmas_f32 v3, v3, v4, v6
	v_div_fixup_f32 v2, v3, v2, 1.0
	v_mul_f32_e32 v1, v2, v1
	s_andn2_b64 vcc, exec, s[0:1]
	v_cmp_gt_i32_e64 s[0:1], s13, v12
	s_cbranch_vccnz .LBB4_35
.LBB4_39:
	v_max_f32_e32 v2, v1, v1
	v_max_f32_e32 v2, 0xff800000, v2
	v_mov_b32_e32 v3, 0xff800000
	v_cndmask_b32_e64 v2, v3, v2, s[0:1]
	v_mbcnt_hi_u32_b32 v3, -1, v13
	v_and_b32_e32 v4, 0x60, v3
	v_add_u32_e32 v4, 32, v4
	v_xor_b32_e32 v5, 16, v3
	v_cmp_lt_i32_e32 vcc, v5, v4
	s_mov_b32 s2, 0x3fb8aa3b
	s_nop 0
	v_cndmask_b32_e32 v5, v3, v5, vcc
	v_lshlrev_b32_e32 v5, 2, v5
	ds_bpermute_b32 v6, v5, v2
	s_waitcnt lgkmcnt(0)
	v_max_f32_e32 v6, v6, v6
	v_max_f32_e32 v2, v2, v6
	v_xor_b32_e32 v6, 8, v3
	v_cmp_lt_i32_e32 vcc, v6, v4
	s_nop 1
	v_cndmask_b32_e32 v6, v3, v6, vcc
	v_lshlrev_b32_e32 v6, 2, v6
	ds_bpermute_b32 v7, v6, v2
	s_waitcnt lgkmcnt(0)
	v_max_f32_e32 v7, v7, v7
	v_max_f32_e32 v2, v2, v7
	v_xor_b32_e32 v7, 4, v3
	v_cmp_lt_i32_e32 vcc, v7, v4
	;; [unrolled: 9-line block ×4, first 2 shown]
	s_nop 1
	v_cndmask_b32_e32 v3, v3, v9, vcc
	v_lshlrev_b32_e32 v4, 2, v3
	ds_bpermute_b32 v3, v4, v2
	s_waitcnt lgkmcnt(0)
	v_max_f32_e32 v3, v3, v3
	v_max_f32_e32 v2, v2, v3
	v_sub_f32_e32 v1, v1, v2
	v_mul_f32_e32 v2, 0x3fb8aa3b, v1
	v_fma_f32 v3, v1, s2, -v2
	v_rndne_f32_e32 v9, v2
	v_fmamk_f32 v3, v1, 0x32a5705f, v3
	v_sub_f32_e32 v2, v2, v9
	v_add_f32_e32 v2, v2, v3
	v_exp_f32_e32 v2, v2
	v_cvt_i32_f32_e32 v3, v9
	s_mov_b32 s2, 0xc2ce8ed0
	v_cmp_ngt_f32_e32 vcc, s2, v1
	s_mov_b32 s2, 0x42b17218
	v_ldexp_f32 v2, v2, v3
	v_cndmask_b32_e32 v2, 0, v2, vcc
	v_mov_b32_e32 v3, 0x7f800000
	v_cmp_nlt_f32_e32 vcc, s2, v1
	s_nop 1
	v_cndmask_b32_e32 v2, v3, v2, vcc
	v_cndmask_b32_e64 v1, 0, v2, s[0:1]
	ds_bpermute_b32 v3, v5, v1
	s_waitcnt lgkmcnt(0)
	v_add_f32_e32 v1, v1, v3
	ds_bpermute_b32 v3, v6, v1
	s_waitcnt lgkmcnt(0)
	v_add_f32_e32 v1, v1, v3
	ds_bpermute_b32 v3, v7, v1
	s_waitcnt lgkmcnt(0)
	v_add_f32_e32 v1, v1, v3
	ds_bpermute_b32 v3, v8, v1
	s_waitcnt lgkmcnt(0)
	v_add_f32_e32 v3, v1, v3
	ds_bpermute_b32 v4, v4, v3
	v_mov_b32_e32 v1, 0
	s_and_saveexec_b64 s[2:3], s[0:1]
	s_cbranch_execz .LBB4_41
; %bb.40:
	s_waitcnt lgkmcnt(0)
	v_add_f32_e32 v1, v3, v4
	v_div_scale_f32 v3, s[0:1], v1, v1, 1.0
	v_rcp_f32_e32 v4, v3
	v_div_scale_f32 v5, vcc, 1.0, v1, 1.0
	v_fma_f32 v6, -v3, v4, 1.0
	v_fmac_f32_e32 v4, v6, v4
	v_mul_f32_e32 v6, v5, v4
	v_fma_f32 v7, -v3, v6, v5
	v_fmac_f32_e32 v6, v7, v4
	v_fma_f32 v3, -v3, v6, v5
	v_div_fmas_f32 v3, v3, v4, v6
	v_div_fixup_f32 v1, v3, v1, 1.0
	v_mul_f32_e32 v1, v2, v1
.LBB4_41:
	s_or_b64 exec, exec, s[2:3]
	v_cmp_gt_i32_e32 vcc, s13, v12
	s_and_b64 exec, exec, vcc
	s_cbranch_execnz .LBB4_36
	s_branch .LBB4_37
	.section	.rodata,"a",@progbits
	.p2align	6, 0x0
	.amdhsa_kernel _Z13topk_moe_cudaILi16ELb1EEvPKfPfPiS2_iiff15topk_moe_config
		.amdhsa_group_segment_fixed_size 0
		.amdhsa_private_segment_fixed_size 0
		.amdhsa_kernarg_size 312
		.amdhsa_user_sgpr_count 2
		.amdhsa_user_sgpr_dispatch_ptr 0
		.amdhsa_user_sgpr_queue_ptr 0
		.amdhsa_user_sgpr_kernarg_segment_ptr 1
		.amdhsa_user_sgpr_dispatch_id 0
		.amdhsa_user_sgpr_kernarg_preload_length 0
		.amdhsa_user_sgpr_kernarg_preload_offset 0
		.amdhsa_user_sgpr_private_segment_size 0
		.amdhsa_uses_dynamic_stack 0
		.amdhsa_enable_private_segment 0
		.amdhsa_system_sgpr_workgroup_id_x 1
		.amdhsa_system_sgpr_workgroup_id_y 0
		.amdhsa_system_sgpr_workgroup_id_z 0
		.amdhsa_system_sgpr_workgroup_info 0
		.amdhsa_system_vgpr_workitem_id 1
		.amdhsa_next_free_vgpr 26
		.amdhsa_next_free_sgpr 16
		.amdhsa_accum_offset 28
		.amdhsa_reserve_vcc 1
		.amdhsa_float_round_mode_32 0
		.amdhsa_float_round_mode_16_64 0
		.amdhsa_float_denorm_mode_32 3
		.amdhsa_float_denorm_mode_16_64 3
		.amdhsa_dx10_clamp 1
		.amdhsa_ieee_mode 1
		.amdhsa_fp16_overflow 0
		.amdhsa_tg_split 0
		.amdhsa_exception_fp_ieee_invalid_op 0
		.amdhsa_exception_fp_denorm_src 0
		.amdhsa_exception_fp_ieee_div_zero 0
		.amdhsa_exception_fp_ieee_overflow 0
		.amdhsa_exception_fp_ieee_underflow 0
		.amdhsa_exception_fp_ieee_inexact 0
		.amdhsa_exception_int_div_zero 0
	.end_amdhsa_kernel
	.section	.text._Z13topk_moe_cudaILi16ELb1EEvPKfPfPiS2_iiff15topk_moe_config,"axG",@progbits,_Z13topk_moe_cudaILi16ELb1EEvPKfPfPiS2_iiff15topk_moe_config,comdat
.Lfunc_end4:
	.size	_Z13topk_moe_cudaILi16ELb1EEvPKfPfPiS2_iiff15topk_moe_config, .Lfunc_end4-_Z13topk_moe_cudaILi16ELb1EEvPKfPfPiS2_iiff15topk_moe_config
                                        ; -- End function
	.set _Z13topk_moe_cudaILi16ELb1EEvPKfPfPiS2_iiff15topk_moe_config.num_vgpr, 26
	.set _Z13topk_moe_cudaILi16ELb1EEvPKfPfPiS2_iiff15topk_moe_config.num_agpr, 0
	.set _Z13topk_moe_cudaILi16ELb1EEvPKfPfPiS2_iiff15topk_moe_config.numbered_sgpr, 16
	.set _Z13topk_moe_cudaILi16ELb1EEvPKfPfPiS2_iiff15topk_moe_config.num_named_barrier, 0
	.set _Z13topk_moe_cudaILi16ELb1EEvPKfPfPiS2_iiff15topk_moe_config.private_seg_size, 0
	.set _Z13topk_moe_cudaILi16ELb1EEvPKfPfPiS2_iiff15topk_moe_config.uses_vcc, 1
	.set _Z13topk_moe_cudaILi16ELb1EEvPKfPfPiS2_iiff15topk_moe_config.uses_flat_scratch, 0
	.set _Z13topk_moe_cudaILi16ELb1EEvPKfPfPiS2_iiff15topk_moe_config.has_dyn_sized_stack, 0
	.set _Z13topk_moe_cudaILi16ELb1EEvPKfPfPiS2_iiff15topk_moe_config.has_recursion, 0
	.set _Z13topk_moe_cudaILi16ELb1EEvPKfPfPiS2_iiff15topk_moe_config.has_indirect_call, 0
	.section	.AMDGPU.csdata,"",@progbits
; Kernel info:
; codeLenInByte = 2772
; TotalNumSgprs: 22
; NumVgprs: 26
; NumAgprs: 0
; TotalNumVgprs: 26
; ScratchSize: 0
; MemoryBound: 0
; FloatMode: 240
; IeeeMode: 1
; LDSByteSize: 0 bytes/workgroup (compile time only)
; SGPRBlocks: 2
; VGPRBlocks: 3
; NumSGPRsForWavesPerEU: 22
; NumVGPRsForWavesPerEU: 26
; AccumOffset: 28
; Occupancy: 8
; WaveLimiterHint : 0
; COMPUTE_PGM_RSRC2:SCRATCH_EN: 0
; COMPUTE_PGM_RSRC2:USER_SGPR: 2
; COMPUTE_PGM_RSRC2:TRAP_HANDLER: 0
; COMPUTE_PGM_RSRC2:TGID_X_EN: 1
; COMPUTE_PGM_RSRC2:TGID_Y_EN: 0
; COMPUTE_PGM_RSRC2:TGID_Z_EN: 0
; COMPUTE_PGM_RSRC2:TIDIG_COMP_CNT: 1
; COMPUTE_PGM_RSRC3_GFX90A:ACCUM_OFFSET: 6
; COMPUTE_PGM_RSRC3_GFX90A:TG_SPLIT: 0
	.section	.text._Z13topk_moe_cudaILi32ELb1EEvPKfPfPiS2_iiff15topk_moe_config,"axG",@progbits,_Z13topk_moe_cudaILi32ELb1EEvPKfPfPiS2_iiff15topk_moe_config,comdat
	.protected	_Z13topk_moe_cudaILi32ELb1EEvPKfPfPiS2_iiff15topk_moe_config ; -- Begin function _Z13topk_moe_cudaILi32ELb1EEvPKfPfPiS2_iiff15topk_moe_config
	.globl	_Z13topk_moe_cudaILi32ELb1EEvPKfPfPiS2_iiff15topk_moe_config
	.p2align	8
	.type	_Z13topk_moe_cudaILi32ELb1EEvPKfPfPiS2_iiff15topk_moe_config,@function
_Z13topk_moe_cudaILi32ELb1EEvPKfPfPiS2_iiff15topk_moe_config: ; @_Z13topk_moe_cudaILi32ELb1EEvPKfPfPiS2_iiff15topk_moe_config
; %bb.0:
	s_load_dword s3, s[0:1], 0x44
	s_load_dwordx4 s[12:15], s[0:1], 0x20
	v_bfe_u32 v1, v0, 10, 10
	s_waitcnt lgkmcnt(0)
	s_lshr_b32 s3, s3, 16
	s_mul_i32 s2, s2, s3
	v_add_u32_e32 v11, s2, v1
	v_cmp_gt_i32_e32 vcc, s12, v11
	s_and_saveexec_b64 s[2:3], vcc
	s_cbranch_execz .LBB5_33
; %bb.1:
	s_load_dwordx8 s[4:11], s[0:1], 0x0
	v_mov_b32_e32 v1, 0
	global_load_ushort v5, v1, s[0:1] offset:48
	v_lshlrev_b32_e32 v2, 5, v11
	v_ashrrev_i32_e32 v3, 31, v2
	s_waitcnt lgkmcnt(0)
	v_mov_b32_e32 v6, s4
	v_mov_b32_e32 v7, s5
	v_and_b32_e32 v12, 0x3ff, v0
	v_lshl_add_u64 v[6:7], v[2:3], 2, v[6:7]
	v_lshlrev_b32_e32 v0, 2, v12
	v_lshl_add_u64 v[6:7], v[6:7], 0, v[0:1]
	global_load_dword v4, v[6:7], off
	s_load_dword s0, s[0:1], 0x30
	s_waitcnt vmcnt(1)
	v_readfirstlane_b32 s1, v5
	s_and_b32 s2, 0xffff, s1
	s_waitcnt lgkmcnt(0)
	s_bitcmp1_b32 s0, 16
	s_cselect_b64 s[4:5], -1, 0
	s_and_b64 vcc, exec, s[4:5]
	s_cbranch_vccnz .LBB5_7
; %bb.2:
	v_and_b32_e32 v1, 1, v5
	v_cmp_eq_u32_e32 vcc, 0, v1
	s_cbranch_vccz .LBB5_4
; %bb.3:
	v_mbcnt_lo_u32_b32 v5, -1, 0
	v_mbcnt_hi_u32_b32 v5, -1, v5
	v_and_b32_e32 v6, 0x60, v5
	v_add_u32_e32 v6, 32, v6
	v_xor_b32_e32 v7, 16, v5
	v_cmp_lt_i32_e32 vcc, v7, v6
	s_waitcnt vmcnt(0)
	v_max_f32_e32 v1, v4, v4
	v_max_f32_e32 v1, 0xff800000, v1
	v_cndmask_b32_e32 v7, v5, v7, vcc
	v_lshlrev_b32_e32 v7, 2, v7
	ds_bpermute_b32 v8, v7, v1
	s_mov_b32 s0, 0x3fb8aa3b
	s_waitcnt lgkmcnt(0)
	v_max_f32_e32 v8, v8, v8
	v_max_f32_e32 v1, v1, v8
	v_xor_b32_e32 v8, 8, v5
	v_cmp_lt_i32_e32 vcc, v8, v6
	s_nop 1
	v_cndmask_b32_e32 v8, v5, v8, vcc
	v_lshlrev_b32_e32 v8, 2, v8
	ds_bpermute_b32 v9, v8, v1
	s_waitcnt lgkmcnt(0)
	v_max_f32_e32 v9, v9, v9
	v_max_f32_e32 v1, v1, v9
	v_xor_b32_e32 v9, 4, v5
	v_cmp_lt_i32_e32 vcc, v9, v6
	s_nop 1
	v_cndmask_b32_e32 v9, v5, v9, vcc
	v_lshlrev_b32_e32 v9, 2, v9
	ds_bpermute_b32 v10, v9, v1
	;; [unrolled: 9-line block ×4, first 2 shown]
	s_waitcnt lgkmcnt(0)
	v_max_f32_e32 v6, v6, v6
	v_max_f32_e32 v1, v1, v6
	v_sub_f32_e32 v1, v4, v1
	v_mul_f32_e32 v6, 0x3fb8aa3b, v1
	v_fma_f32 v13, v1, s0, -v6
	v_rndne_f32_e32 v14, v6
	v_fmamk_f32 v13, v1, 0x32a5705f, v13
	v_sub_f32_e32 v6, v6, v14
	v_add_f32_e32 v6, v6, v13
	v_exp_f32_e32 v6, v6
	v_cvt_i32_f32_e32 v13, v14
	s_mov_b32 s0, 0xc2ce8ed0
	v_cmp_ngt_f32_e32 vcc, s0, v1
	s_mov_b32 s0, 0x42b17218
	v_ldexp_f32 v6, v6, v13
	v_cndmask_b32_e32 v6, 0, v6, vcc
	v_mov_b32_e32 v13, 0x7f800000
	v_cmp_nlt_f32_e32 vcc, s0, v1
	s_nop 1
	v_cndmask_b32_e32 v1, v13, v6, vcc
	ds_bpermute_b32 v6, v7, v1
	s_waitcnt lgkmcnt(0)
	v_add_f32_e32 v6, v1, v6
	ds_bpermute_b32 v7, v8, v6
	s_waitcnt lgkmcnt(0)
	v_add_f32_e32 v6, v6, v7
	;; [unrolled: 3-line block ×5, first 2 shown]
	v_div_scale_f32 v6, s[0:1], v5, v5, 1.0
	v_rcp_f32_e32 v7, v6
	v_div_scale_f32 v8, vcc, 1.0, v5, 1.0
	v_fma_f32 v9, -v6, v7, 1.0
	v_fmac_f32_e32 v7, v9, v7
	v_mul_f32_e32 v9, v8, v7
	v_fma_f32 v10, -v6, v9, v8
	v_fmac_f32_e32 v9, v10, v7
	v_fma_f32 v6, -v6, v9, v8
	v_div_fmas_f32 v6, v6, v7, v9
	v_div_fixup_f32 v5, v6, v5, 1.0
	v_mul_f32_e32 v1, v1, v5
	s_cbranch_execz .LBB5_5
	s_branch .LBB5_6
.LBB5_4:
                                        ; implicit-def: $vgpr1
.LBB5_5:
	s_waitcnt vmcnt(0)
	v_mul_f32_e32 v1, 0xbfb8aa3b, v4
	s_mov_b32 s0, 0xbfb8aa3b
	v_rndne_f32_e32 v5, v1
	v_sub_f32_e32 v6, v1, v5
	v_fma_f32 v1, v4, s0, -v1
	v_fmamk_f32 v1, v4, 0xb2a5705f, v1
	v_add_f32_e32 v1, v6, v1
	v_exp_f32_e32 v1, v1
	v_cvt_i32_f32_e32 v5, v5
	s_mov_b32 s0, 0x42ce8ed0
	v_cmp_nlt_f32_e32 vcc, s0, v4
	s_mov_b32 s0, 0xc2b17218
	v_ldexp_f32 v1, v1, v5
	v_cndmask_b32_e32 v1, 0, v1, vcc
	v_mov_b32_e32 v5, 0x7f800000
	v_cmp_ngt_f32_e32 vcc, s0, v4
	s_nop 1
	v_cndmask_b32_e32 v1, v5, v1, vcc
	v_add_f32_e32 v1, 1.0, v1
	v_div_scale_f32 v4, s[0:1], v1, v1, 1.0
	v_rcp_f32_e32 v5, v4
	s_nop 0
	v_fma_f32 v6, -v4, v5, 1.0
	v_fmac_f32_e32 v5, v6, v5
	v_div_scale_f32 v6, vcc, 1.0, v1, 1.0
	v_mul_f32_e32 v7, v6, v5
	v_fma_f32 v8, -v4, v7, v6
	v_fmac_f32_e32 v7, v8, v5
	v_fma_f32 v4, -v4, v7, v6
	v_div_fmas_f32 v4, v4, v5, v7
	v_div_fixup_f32 v1, v4, v1, 1.0
.LBB5_6:
	s_waitcnt vmcnt(0)
	v_mov_b32_e32 v4, v1
.LBB5_7:
	s_lshr_b32 s2, s2, 8
	s_cmp_gt_i32 s13, 0
	s_cbranch_scc1 .LBB5_9
; %bb.8:
	s_bitcmp1_b32 s2, 0
	s_mov_b64 s[0:1], 0
	s_cselect_b64 s[16:17], -1, 0
	s_branch .LBB5_10
.LBB5_9:
	s_mov_b64 s[0:1], -1
                                        ; implicit-def: $sgpr16_sgpr17
.LBB5_10:
	v_mov_b32_e32 v14, 0
	s_andn2_b64 vcc, exec, s[0:1]
	v_mbcnt_lo_u32_b32 v1, -1, 0
	v_mov_b32_e32 v13, 0
	s_cbranch_vccnz .LBB5_29
; %bb.11:
	global_load_dword v5, v0, s[10:11]
	v_mov_b32_e32 v6, s8
	v_mov_b32_e32 v7, s9
	v_mbcnt_hi_u32_b32 v9, -1, v1
	v_lshl_add_u64 v[2:3], v[2:3], 2, v[6:7]
	v_and_b32_e32 v6, 0x60, v9
	v_mov_b32_e32 v8, 0xff7fffff
	s_waitcnt vmcnt(1)
	v_cmp_o_f32_e32 vcc, v4, v4
	v_xor_b32_e32 v7, 16, v9
	v_add_u32_e32 v6, 32, v6
	v_cndmask_b32_e32 v4, v8, v4, vcc
	v_xor_b32_e32 v8, 8, v9
	v_cmp_lt_i32_e32 vcc, v7, v6
	v_xor_b32_e32 v10, 4, v9
	v_xor_b32_e32 v13, 2, v9
	v_cndmask_b32_e32 v7, v9, v7, vcc
	v_cmp_lt_i32_e32 vcc, v8, v6
	v_xor_b32_e32 v16, 1, v9
	s_bitcmp1_b32 s2, 0
	v_cndmask_b32_e32 v8, v9, v8, vcc
	v_cmp_lt_i32_e32 vcc, v10, v6
	s_mov_b32 s10, 0
	v_mov_b32_e32 v14, 0
	v_cndmask_b32_e32 v10, v9, v10, vcc
	v_cmp_lt_i32_e32 vcc, v13, v6
	v_mov_b32_e32 v15, 0xff800000
	s_cselect_b64 s[16:17], -1, 0
	v_cndmask_b32_e32 v13, v9, v13, vcc
	v_cmp_lt_i32_e32 vcc, v16, v6
	v_lshlrev_b32_e32 v17, 2, v8
	v_lshlrev_b32_e32 v18, 2, v10
	v_cndmask_b32_e32 v6, v9, v16, vcc
	v_lshlrev_b32_e32 v16, 2, v7
	v_lshlrev_b32_e32 v19, 2, v13
	;; [unrolled: 1-line block ×3, first 2 shown]
	v_mov_b32_e32 v13, 0
	s_waitcnt vmcnt(0)
	v_add_f32_e32 v5, v4, v5
	s_branch .LBB5_13
.LBB5_12:                               ;   in Loop: Header=BB5_13 Depth=1
	s_or_b64 exec, exec, s[0:1]
	s_and_b32 s0, s10, 31
	v_cndmask_b32_e32 v5, v5, v15, vcc
	v_cmp_eq_u32_e32 vcc, s0, v12
	s_add_i32 s10, s10, 1
	s_cmp_eq_u32 s13, s10
	v_cndmask_b32_e32 v13, v13, v6, vcc
	v_lshl_add_u64 v[2:3], v[2:3], 0, 4
	s_cbranch_scc1 .LBB5_29
.LBB5_13:                               ; =>This Inner Loop Header: Depth=1
	ds_bpermute_b32 v9, v16, v5
	ds_bpermute_b32 v10, v16, v12
	;; [unrolled: 1-line block ×3, first 2 shown]
	v_mov_b32_e32 v21, v5
	v_mov_b32_e32 v23, v4
	s_waitcnt lgkmcnt(2)
	v_cmp_eq_f32_e64 s[0:1], v5, v9
	s_waitcnt lgkmcnt(1)
	v_cmp_lt_i32_e64 s[2:3], v10, v12
	v_cmp_lt_f32_e32 vcc, v5, v9
	s_and_b64 s[0:1], s[0:1], s[2:3]
	s_or_b64 s[2:3], vcc, s[0:1]
	v_mov_b32_e32 v22, v12
	v_mov_b64_e32 v[6:7], v[4:5]
	s_and_saveexec_b64 s[0:1], s[2:3]
	s_cbranch_execz .LBB5_15
; %bb.14:                               ;   in Loop: Header=BB5_13 Depth=1
	v_mov_b32_e32 v21, v9
	s_waitcnt lgkmcnt(0)
	v_mov_b32_e32 v23, v8
	v_mov_b32_e32 v22, v10
	v_mov_b64_e32 v[6:7], v[8:9]
.LBB5_15:                               ;   in Loop: Header=BB5_13 Depth=1
	s_or_b64 exec, exec, s[0:1]
	ds_bpermute_b32 v25, v17, v21
	ds_bpermute_b32 v10, v17, v23
	;; [unrolled: 1-line block ×3, first 2 shown]
	s_waitcnt lgkmcnt(2)
	v_cmp_lt_f32_e64 s[2:3], v7, v25
	v_cmp_nlt_f32_e32 vcc, v7, v25
	s_and_saveexec_b64 s[8:9], vcc
	s_cbranch_execz .LBB5_17
; %bb.16:                               ;   in Loop: Header=BB5_13 Depth=1
	v_cmp_eq_f32_e32 vcc, v7, v25
	s_waitcnt lgkmcnt(0)
	v_cmp_lt_i32_e64 s[0:1], v24, v22
	s_and_b64 s[0:1], vcc, s[0:1]
	s_andn2_b64 s[2:3], s[2:3], exec
	s_and_b64 s[0:1], s[0:1], exec
	s_or_b64 s[2:3], s[2:3], s[0:1]
.LBB5_17:                               ;   in Loop: Header=BB5_13 Depth=1
	s_or_b64 exec, exec, s[8:9]
	v_mov_b64_e32 v[8:9], v[6:7]
	s_and_saveexec_b64 s[0:1], s[2:3]
	s_cbranch_execz .LBB5_19
; %bb.18:                               ;   in Loop: Header=BB5_13 Depth=1
	v_mov_b32_e32 v7, v25
	v_mov_b32_e32 v21, v25
	s_waitcnt lgkmcnt(1)
	v_mov_b32_e32 v23, v10
	s_waitcnt lgkmcnt(0)
	v_mov_b32_e32 v22, v24
	v_mov_b64_e32 v[8:9], v[10:11]
.LBB5_19:                               ;   in Loop: Header=BB5_13 Depth=1
	s_or_b64 exec, exec, s[0:1]
	s_waitcnt lgkmcnt(1)
	ds_bpermute_b32 v10, v18, v21
	ds_bpermute_b32 v6, v18, v23
	;; [unrolled: 1-line block ×3, first 2 shown]
	s_waitcnt lgkmcnt(2)
	v_cmp_lt_f32_e64 s[2:3], v7, v10
	v_cmp_nlt_f32_e32 vcc, v7, v10
	s_and_saveexec_b64 s[8:9], vcc
	s_cbranch_execz .LBB5_21
; %bb.20:                               ;   in Loop: Header=BB5_13 Depth=1
	v_cmp_eq_f32_e32 vcc, v7, v10
	s_waitcnt lgkmcnt(0)
	v_cmp_lt_i32_e64 s[0:1], v9, v22
	s_and_b64 s[0:1], vcc, s[0:1]
	s_andn2_b64 s[2:3], s[2:3], exec
	s_and_b64 s[0:1], s[0:1], exec
	s_or_b64 s[2:3], s[2:3], s[0:1]
.LBB5_21:                               ;   in Loop: Header=BB5_13 Depth=1
	s_or_b64 exec, exec, s[8:9]
	s_and_saveexec_b64 s[0:1], s[2:3]
	s_cbranch_execz .LBB5_23
; %bb.22:                               ;   in Loop: Header=BB5_13 Depth=1
	v_mov_b32_e32 v7, v10
	v_mov_b32_e32 v21, v10
	s_waitcnt lgkmcnt(1)
	v_mov_b32_e32 v23, v6
	s_waitcnt lgkmcnt(0)
	v_mov_b32_e32 v22, v9
	v_mov_b64_e32 v[8:9], v[6:7]
.LBB5_23:                               ;   in Loop: Header=BB5_13 Depth=1
	s_or_b64 exec, exec, s[0:1]
	ds_bpermute_b32 v10, v19, v21
	s_waitcnt lgkmcnt(2)
	ds_bpermute_b32 v6, v19, v23
	s_waitcnt lgkmcnt(2)
	ds_bpermute_b32 v9, v19, v22
	s_waitcnt lgkmcnt(2)
	v_cmp_lt_f32_e64 s[2:3], v7, v10
	v_cmp_nlt_f32_e32 vcc, v7, v10
	s_and_saveexec_b64 s[8:9], vcc
	s_cbranch_execz .LBB5_25
; %bb.24:                               ;   in Loop: Header=BB5_13 Depth=1
	v_cmp_eq_f32_e32 vcc, v7, v10
	s_waitcnt lgkmcnt(0)
	v_cmp_lt_i32_e64 s[0:1], v9, v22
	s_and_b64 s[0:1], vcc, s[0:1]
	s_andn2_b64 s[2:3], s[2:3], exec
	s_and_b64 s[0:1], s[0:1], exec
	s_or_b64 s[2:3], s[2:3], s[0:1]
.LBB5_25:                               ;   in Loop: Header=BB5_13 Depth=1
	s_or_b64 exec, exec, s[8:9]
	s_and_saveexec_b64 s[0:1], s[2:3]
	s_cbranch_execz .LBB5_27
; %bb.26:                               ;   in Loop: Header=BB5_13 Depth=1
	v_mov_b32_e32 v7, v10
	v_mov_b32_e32 v21, v10
	s_waitcnt lgkmcnt(1)
	v_mov_b32_e32 v23, v6
	s_waitcnt lgkmcnt(0)
	v_mov_b32_e32 v22, v9
	v_mov_b64_e32 v[8:9], v[6:7]
.LBB5_27:                               ;   in Loop: Header=BB5_13 Depth=1
	s_or_b64 exec, exec, s[0:1]
	s_waitcnt lgkmcnt(1)
	ds_bpermute_b32 v6, v20, v21
	s_waitcnt lgkmcnt(1)
	ds_bpermute_b32 v9, v20, v22
	ds_bpermute_b32 v10, v20, v23
	s_waitcnt lgkmcnt(2)
	v_cmp_eq_f32_e64 s[0:1], v7, v6
	s_waitcnt lgkmcnt(1)
	v_cmp_lt_i32_e64 s[2:3], v9, v22
	v_cmp_lt_f32_e32 vcc, v7, v6
	s_and_b64 s[0:1], s[0:1], s[2:3]
	s_or_b64 vcc, vcc, s[0:1]
	v_cndmask_b32_e32 v7, v22, v9, vcc
	s_waitcnt lgkmcnt(0)
	v_cndmask_b32_e32 v6, v8, v10, vcc
	v_and_b32_e32 v8, 31, v7
	v_cmp_eq_u32_e32 vcc, v8, v12
	s_and_saveexec_b64 s[0:1], vcc
	s_cbranch_execz .LBB5_12
; %bb.28:                               ;   in Loop: Header=BB5_13 Depth=1
	v_add_f32_e32 v8, v14, v6
	v_cndmask_b32_e64 v14, v14, v8, s[16:17]
	global_store_dword v[2:3], v7, off
	s_branch .LBB5_12
.LBB5_29:
	s_and_b64 vcc, exec, s[16:17]
	s_cbranch_vccnz .LBB5_34
; %bb.30:
	s_andn2_b64 vcc, exec, s[4:5]
	v_cmp_gt_i32_e64 s[0:1], s13, v12
	s_cbranch_vccz .LBB5_35
.LBB5_31:
	v_cmp_gt_i32_e32 vcc, s13, v12
	s_and_b64 exec, exec, vcc
	s_cbranch_execz .LBB5_33
.LBB5_32:
	s_waitcnt vmcnt(0)
	v_mul_lo_u32 v4, v11, s13
	v_mov_b32_e32 v2, s6
	s_waitcnt lgkmcnt(0)
	v_mov_b32_e32 v3, s7
	v_ashrrev_i32_e32 v5, 31, v4
	v_lshl_add_u64 v[2:3], v[4:5], 2, v[2:3]
	v_mov_b32_e32 v1, 0
	v_mul_f32_e32 v4, s15, v13
	v_lshl_add_u64 v[0:1], v[2:3], 0, v[0:1]
	global_store_dword v[0:1], v4, off
.LBB5_33:
	s_endpgm
.LBB5_34:
	v_mbcnt_hi_u32_b32 v2, -1, v1
	v_and_b32_e32 v3, 0x60, v2
	v_add_u32_e32 v3, 32, v3
	s_waitcnt vmcnt(0)
	v_xor_b32_e32 v4, 16, v2
	v_cmp_lt_i32_e32 vcc, v4, v3
	v_xor_b32_e32 v5, 8, v2
	v_xor_b32_e32 v6, 4, v2
	v_cndmask_b32_e32 v4, v2, v4, vcc
	v_lshlrev_b32_e32 v4, 2, v4
	ds_bpermute_b32 v4, v4, v14
	v_cmp_lt_i32_e32 vcc, v5, v3
	s_waitcnt lgkmcnt(0)
	v_add_f32_e32 v4, v14, v4
	v_cndmask_b32_e32 v5, v2, v5, vcc
	v_lshlrev_b32_e32 v5, 2, v5
	ds_bpermute_b32 v5, v5, v4
	v_cmp_lt_i32_e32 vcc, v6, v3
	s_waitcnt lgkmcnt(0)
	v_add_f32_e32 v4, v4, v5
	v_cndmask_b32_e32 v5, v2, v6, vcc
	v_lshlrev_b32_e32 v5, 2, v5
	ds_bpermute_b32 v5, v5, v4
	v_xor_b32_e32 v6, 2, v2
	v_cmp_lt_i32_e32 vcc, v6, v3
	s_waitcnt lgkmcnt(0)
	v_add_f32_e32 v4, v4, v5
	v_cndmask_b32_e32 v5, v2, v6, vcc
	v_lshlrev_b32_e32 v5, 2, v5
	ds_bpermute_b32 v5, v5, v4
	v_xor_b32_e32 v6, 1, v2
	v_cmp_lt_i32_e32 vcc, v6, v3
	v_max_f32_e64 v3, s14, s14
	s_waitcnt lgkmcnt(0)
	v_add_f32_e32 v4, v4, v5
	v_cndmask_b32_e32 v2, v2, v6, vcc
	v_lshlrev_b32_e32 v2, 2, v2
	ds_bpermute_b32 v2, v2, v4
	s_waitcnt lgkmcnt(0)
	v_add_f32_e32 v2, v4, v2
	v_max_f32_e32 v2, v2, v3
	v_div_scale_f32 v3, s[0:1], v2, v2, 1.0
	v_rcp_f32_e32 v4, v3
	v_div_scale_f32 v5, vcc, 1.0, v2, 1.0
	v_fma_f32 v6, -v3, v4, 1.0
	v_fmac_f32_e32 v4, v6, v4
	v_mul_f32_e32 v6, v5, v4
	v_fma_f32 v7, -v3, v6, v5
	v_fmac_f32_e32 v6, v7, v4
	v_fma_f32 v3, -v3, v6, v5
	v_div_fmas_f32 v3, v3, v4, v6
	v_div_fixup_f32 v2, v3, v2, 1.0
	v_mul_f32_e32 v13, v2, v13
	s_andn2_b64 vcc, exec, s[4:5]
	v_cmp_gt_i32_e64 s[0:1], s13, v12
	s_cbranch_vccnz .LBB5_31
.LBB5_35:
	v_max_f32_e32 v2, v13, v13
	v_max_f32_e32 v2, 0xff800000, v2
	v_mov_b32_e32 v3, 0xff800000
	v_mbcnt_hi_u32_b32 v1, -1, v1
	v_cndmask_b32_e64 v2, v3, v2, s[0:1]
	v_and_b32_e32 v3, 0x60, v1
	v_add_u32_e32 v3, 32, v3
	s_waitcnt vmcnt(0)
	v_xor_b32_e32 v4, 16, v1
	v_cmp_lt_i32_e32 vcc, v4, v3
	s_mov_b32 s2, 0x3fb8aa3b
	s_nop 0
	v_cndmask_b32_e32 v4, v1, v4, vcc
	v_lshlrev_b32_e32 v4, 2, v4
	ds_bpermute_b32 v5, v4, v2
	s_waitcnt lgkmcnt(0)
	v_max_f32_e32 v5, v5, v5
	v_max_f32_e32 v2, v2, v5
	v_xor_b32_e32 v5, 8, v1
	v_cmp_lt_i32_e32 vcc, v5, v3
	s_nop 1
	v_cndmask_b32_e32 v5, v1, v5, vcc
	v_lshlrev_b32_e32 v5, 2, v5
	ds_bpermute_b32 v6, v5, v2
	s_waitcnt lgkmcnt(0)
	v_max_f32_e32 v6, v6, v6
	v_max_f32_e32 v2, v2, v6
	v_xor_b32_e32 v6, 4, v1
	v_cmp_lt_i32_e32 vcc, v6, v3
	;; [unrolled: 9-line block ×4, first 2 shown]
	s_nop 1
	v_cndmask_b32_e32 v1, v1, v8, vcc
	v_lshlrev_b32_e32 v3, 2, v1
	ds_bpermute_b32 v1, v3, v2
	s_waitcnt lgkmcnt(0)
	v_max_f32_e32 v1, v1, v1
	v_max_f32_e32 v1, v2, v1
	v_sub_f32_e32 v1, v13, v1
	v_mul_f32_e32 v2, 0x3fb8aa3b, v1
	v_fma_f32 v8, v1, s2, -v2
	v_rndne_f32_e32 v9, v2
	v_fmamk_f32 v8, v1, 0x32a5705f, v8
	v_sub_f32_e32 v2, v2, v9
	v_add_f32_e32 v2, v2, v8
	v_exp_f32_e32 v2, v2
	v_cvt_i32_f32_e32 v8, v9
	s_mov_b32 s2, 0xc2ce8ed0
	v_cmp_ngt_f32_e32 vcc, s2, v1
	s_mov_b32 s2, 0x42b17218
	v_ldexp_f32 v2, v2, v8
	v_cndmask_b32_e32 v2, 0, v2, vcc
	v_mov_b32_e32 v8, 0x7f800000
	v_cmp_nlt_f32_e32 vcc, s2, v1
	v_mov_b32_e32 v13, 0
	s_nop 0
	v_cndmask_b32_e32 v1, v8, v2, vcc
	v_cndmask_b32_e64 v2, 0, v1, s[0:1]
	ds_bpermute_b32 v4, v4, v2
	s_waitcnt lgkmcnt(0)
	v_add_f32_e32 v2, v2, v4
	ds_bpermute_b32 v4, v5, v2
	s_waitcnt lgkmcnt(0)
	v_add_f32_e32 v2, v2, v4
	ds_bpermute_b32 v4, v6, v2
	s_waitcnt lgkmcnt(0)
	v_add_f32_e32 v2, v2, v4
	ds_bpermute_b32 v4, v7, v2
	s_waitcnt lgkmcnt(0)
	v_add_f32_e32 v2, v2, v4
	ds_bpermute_b32 v3, v3, v2
	s_and_saveexec_b64 s[2:3], s[0:1]
	s_cbranch_execz .LBB5_37
; %bb.36:
	s_waitcnt lgkmcnt(0)
	v_add_f32_e32 v2, v2, v3
	v_div_scale_f32 v3, s[0:1], v2, v2, 1.0
	v_rcp_f32_e32 v4, v3
	v_div_scale_f32 v5, vcc, 1.0, v2, 1.0
	v_fma_f32 v6, -v3, v4, 1.0
	v_fmac_f32_e32 v4, v6, v4
	v_mul_f32_e32 v6, v5, v4
	v_fma_f32 v7, -v3, v6, v5
	v_fmac_f32_e32 v6, v7, v4
	v_fma_f32 v3, -v3, v6, v5
	v_div_fmas_f32 v3, v3, v4, v6
	v_div_fixup_f32 v2, v3, v2, 1.0
	v_mul_f32_e32 v13, v1, v2
.LBB5_37:
	s_or_b64 exec, exec, s[2:3]
	v_cmp_gt_i32_e32 vcc, s13, v12
	s_and_b64 exec, exec, vcc
	s_cbranch_execnz .LBB5_32
	s_branch .LBB5_33
	.section	.rodata,"a",@progbits
	.p2align	6, 0x0
	.amdhsa_kernel _Z13topk_moe_cudaILi32ELb1EEvPKfPfPiS2_iiff15topk_moe_config
		.amdhsa_group_segment_fixed_size 0
		.amdhsa_private_segment_fixed_size 0
		.amdhsa_kernarg_size 312
		.amdhsa_user_sgpr_count 2
		.amdhsa_user_sgpr_dispatch_ptr 0
		.amdhsa_user_sgpr_queue_ptr 0
		.amdhsa_user_sgpr_kernarg_segment_ptr 1
		.amdhsa_user_sgpr_dispatch_id 0
		.amdhsa_user_sgpr_kernarg_preload_length 0
		.amdhsa_user_sgpr_kernarg_preload_offset 0
		.amdhsa_user_sgpr_private_segment_size 0
		.amdhsa_uses_dynamic_stack 0
		.amdhsa_enable_private_segment 0
		.amdhsa_system_sgpr_workgroup_id_x 1
		.amdhsa_system_sgpr_workgroup_id_y 0
		.amdhsa_system_sgpr_workgroup_id_z 0
		.amdhsa_system_sgpr_workgroup_info 0
		.amdhsa_system_vgpr_workitem_id 1
		.amdhsa_next_free_vgpr 26
		.amdhsa_next_free_sgpr 18
		.amdhsa_accum_offset 28
		.amdhsa_reserve_vcc 1
		.amdhsa_float_round_mode_32 0
		.amdhsa_float_round_mode_16_64 0
		.amdhsa_float_denorm_mode_32 3
		.amdhsa_float_denorm_mode_16_64 3
		.amdhsa_dx10_clamp 1
		.amdhsa_ieee_mode 1
		.amdhsa_fp16_overflow 0
		.amdhsa_tg_split 0
		.amdhsa_exception_fp_ieee_invalid_op 0
		.amdhsa_exception_fp_denorm_src 0
		.amdhsa_exception_fp_ieee_div_zero 0
		.amdhsa_exception_fp_ieee_overflow 0
		.amdhsa_exception_fp_ieee_underflow 0
		.amdhsa_exception_fp_ieee_inexact 0
		.amdhsa_exception_int_div_zero 0
	.end_amdhsa_kernel
	.section	.text._Z13topk_moe_cudaILi32ELb1EEvPKfPfPiS2_iiff15topk_moe_config,"axG",@progbits,_Z13topk_moe_cudaILi32ELb1EEvPKfPfPiS2_iiff15topk_moe_config,comdat
.Lfunc_end5:
	.size	_Z13topk_moe_cudaILi32ELb1EEvPKfPfPiS2_iiff15topk_moe_config, .Lfunc_end5-_Z13topk_moe_cudaILi32ELb1EEvPKfPfPiS2_iiff15topk_moe_config
                                        ; -- End function
	.set _Z13topk_moe_cudaILi32ELb1EEvPKfPfPiS2_iiff15topk_moe_config.num_vgpr, 26
	.set _Z13topk_moe_cudaILi32ELb1EEvPKfPfPiS2_iiff15topk_moe_config.num_agpr, 0
	.set _Z13topk_moe_cudaILi32ELb1EEvPKfPfPiS2_iiff15topk_moe_config.numbered_sgpr, 18
	.set _Z13topk_moe_cudaILi32ELb1EEvPKfPfPiS2_iiff15topk_moe_config.num_named_barrier, 0
	.set _Z13topk_moe_cudaILi32ELb1EEvPKfPfPiS2_iiff15topk_moe_config.private_seg_size, 0
	.set _Z13topk_moe_cudaILi32ELb1EEvPKfPfPiS2_iiff15topk_moe_config.uses_vcc, 1
	.set _Z13topk_moe_cudaILi32ELb1EEvPKfPfPiS2_iiff15topk_moe_config.uses_flat_scratch, 0
	.set _Z13topk_moe_cudaILi32ELb1EEvPKfPfPiS2_iiff15topk_moe_config.has_dyn_sized_stack, 0
	.set _Z13topk_moe_cudaILi32ELb1EEvPKfPfPiS2_iiff15topk_moe_config.has_recursion, 0
	.set _Z13topk_moe_cudaILi32ELb1EEvPKfPfPiS2_iiff15topk_moe_config.has_indirect_call, 0
	.section	.AMDGPU.csdata,"",@progbits
; Kernel info:
; codeLenInByte = 2732
; TotalNumSgprs: 24
; NumVgprs: 26
; NumAgprs: 0
; TotalNumVgprs: 26
; ScratchSize: 0
; MemoryBound: 0
; FloatMode: 240
; IeeeMode: 1
; LDSByteSize: 0 bytes/workgroup (compile time only)
; SGPRBlocks: 2
; VGPRBlocks: 3
; NumSGPRsForWavesPerEU: 24
; NumVGPRsForWavesPerEU: 26
; AccumOffset: 28
; Occupancy: 8
; WaveLimiterHint : 0
; COMPUTE_PGM_RSRC2:SCRATCH_EN: 0
; COMPUTE_PGM_RSRC2:USER_SGPR: 2
; COMPUTE_PGM_RSRC2:TRAP_HANDLER: 0
; COMPUTE_PGM_RSRC2:TGID_X_EN: 1
; COMPUTE_PGM_RSRC2:TGID_Y_EN: 0
; COMPUTE_PGM_RSRC2:TGID_Z_EN: 0
; COMPUTE_PGM_RSRC2:TIDIG_COMP_CNT: 1
; COMPUTE_PGM_RSRC3_GFX90A:ACCUM_OFFSET: 6
; COMPUTE_PGM_RSRC3_GFX90A:TG_SPLIT: 0
	.section	.text._Z13topk_moe_cudaILi64ELb1EEvPKfPfPiS2_iiff15topk_moe_config,"axG",@progbits,_Z13topk_moe_cudaILi64ELb1EEvPKfPfPiS2_iiff15topk_moe_config,comdat
	.protected	_Z13topk_moe_cudaILi64ELb1EEvPKfPfPiS2_iiff15topk_moe_config ; -- Begin function _Z13topk_moe_cudaILi64ELb1EEvPKfPfPiS2_iiff15topk_moe_config
	.globl	_Z13topk_moe_cudaILi64ELb1EEvPKfPfPiS2_iiff15topk_moe_config
	.p2align	8
	.type	_Z13topk_moe_cudaILi64ELb1EEvPKfPfPiS2_iiff15topk_moe_config,@function
_Z13topk_moe_cudaILi64ELb1EEvPKfPfPiS2_iiff15topk_moe_config: ; @_Z13topk_moe_cudaILi64ELb1EEvPKfPfPiS2_iiff15topk_moe_config
; %bb.0:
	s_load_dword s3, s[0:1], 0x44
	s_load_dwordx4 s[12:15], s[0:1], 0x20
	v_bfe_u32 v1, v0, 10, 10
	s_waitcnt lgkmcnt(0)
	s_lshr_b32 s3, s3, 16
	s_mul_i32 s2, s2, s3
	v_add_u32_e32 v3, s2, v1
	v_cmp_gt_i32_e32 vcc, s12, v3
	s_and_saveexec_b64 s[2:3], vcc
	s_cbranch_execz .LBB6_42
; %bb.1:
	s_load_dwordx8 s[4:11], s[0:1], 0x0
	v_mov_b32_e32 v1, 0
	global_load_ushort v4, v1, s[0:1] offset:48
	v_lshlrev_b32_e32 v8, 6, v3
	v_ashrrev_i32_e32 v9, 31, v8
	s_waitcnt lgkmcnt(0)
	v_mov_b32_e32 v6, s4
	v_mov_b32_e32 v7, s5
	v_and_b32_e32 v2, 0x3ff, v0
	v_lshl_add_u64 v[6:7], v[8:9], 2, v[6:7]
	v_lshlrev_b32_e32 v0, 2, v2
	v_lshl_add_u64 v[6:7], v[6:7], 0, v[0:1]
	global_load_dword v10, v[6:7], off
	global_load_dword v11, v[6:7], off offset:128
	s_load_dword s0, s[0:1], 0x30
	s_waitcnt vmcnt(2)
	v_readfirstlane_b32 s1, v4
	s_and_b32 s2, 0xffff, s1
	s_waitcnt lgkmcnt(0)
	s_bitcmp1_b32 s0, 16
	s_cselect_b64 s[4:5], -1, 0
	s_and_b64 vcc, exec, s[4:5]
	s_cbranch_vccnz .LBB6_7
; %bb.2:
	v_and_b32_e32 v1, 1, v4
	v_cmp_eq_u32_e32 vcc, 0, v1
	s_cbranch_vccz .LBB6_4
; %bb.3:
	v_mbcnt_lo_u32_b32 v4, -1, 0
	v_mbcnt_hi_u32_b32 v4, -1, v4
	v_and_b32_e32 v5, 0x60, v4
	v_add_u32_e32 v5, 32, v5
	v_xor_b32_e32 v6, 16, v4
	v_cmp_lt_i32_e32 vcc, v6, v5
	s_mov_b32 s0, 0xff800000
	s_waitcnt vmcnt(0)
	v_max3_f32 v1, v10, s0, v11
	v_cndmask_b32_e32 v6, v4, v6, vcc
	v_lshlrev_b32_e32 v6, 2, v6
	ds_bpermute_b32 v7, v6, v1
	s_mov_b32 s0, 0x3fb8aa3b
	s_mov_b32 s1, 0xc2ce8ed0
	;; [unrolled: 1-line block ×3, first 2 shown]
	s_waitcnt lgkmcnt(0)
	v_max_f32_e32 v7, v7, v7
	v_max_f32_e32 v1, v1, v7
	v_xor_b32_e32 v7, 8, v4
	v_cmp_lt_i32_e32 vcc, v7, v5
	s_nop 1
	v_cndmask_b32_e32 v7, v4, v7, vcc
	v_lshlrev_b32_e32 v7, 2, v7
	ds_bpermute_b32 v12, v7, v1
	s_waitcnt lgkmcnt(0)
	v_max_f32_e32 v12, v12, v12
	v_max_f32_e32 v1, v1, v12
	v_xor_b32_e32 v12, 4, v4
	v_cmp_lt_i32_e32 vcc, v12, v5
	s_nop 1
	v_cndmask_b32_e32 v12, v4, v12, vcc
	v_lshlrev_b32_e32 v12, 2, v12
	ds_bpermute_b32 v13, v12, v1
	s_waitcnt lgkmcnt(0)
	v_max_f32_e32 v13, v13, v13
	v_max_f32_e32 v1, v1, v13
	v_xor_b32_e32 v13, 2, v4
	v_cmp_lt_i32_e32 vcc, v13, v5
	s_nop 1
	v_cndmask_b32_e32 v13, v4, v13, vcc
	v_lshlrev_b32_e32 v13, 2, v13
	ds_bpermute_b32 v14, v13, v1
	s_waitcnt lgkmcnt(0)
	v_max_f32_e32 v14, v14, v14
	v_max_f32_e32 v1, v1, v14
	v_xor_b32_e32 v14, 1, v4
	v_cmp_lt_i32_e32 vcc, v14, v5
	s_nop 1
	v_cndmask_b32_e32 v4, v4, v14, vcc
	v_lshlrev_b32_e32 v14, 2, v4
	ds_bpermute_b32 v4, v14, v1
	s_waitcnt lgkmcnt(0)
	v_max_f32_e32 v4, v4, v4
	v_max_f32_e32 v1, v1, v4
	v_sub_f32_e32 v4, v10, v1
	v_mul_f32_e32 v5, 0x3fb8aa3b, v4
	v_fma_f32 v15, v4, s0, -v5
	v_rndne_f32_e32 v16, v5
	v_fmac_f32_e32 v15, 0x32a5705f, v4
	v_sub_f32_e32 v5, v5, v16
	v_add_f32_e32 v5, v5, v15
	v_exp_f32_e32 v5, v5
	v_cvt_i32_f32_e32 v15, v16
	v_sub_f32_e32 v1, v11, v1
	v_cmp_ngt_f32_e32 vcc, s1, v4
	v_ldexp_f32 v5, v5, v15
	v_mul_f32_e32 v15, 0x3fb8aa3b, v1
	v_fma_f32 v16, v1, s0, -v15
	v_rndne_f32_e32 v17, v15
	v_fmac_f32_e32 v16, 0x32a5705f, v1
	v_sub_f32_e32 v15, v15, v17
	v_add_f32_e32 v15, v15, v16
	v_exp_f32_e32 v15, v15
	v_cvt_i32_f32_e32 v16, v17
	v_cndmask_b32_e32 v5, 0, v5, vcc
	v_mov_b32_e32 v17, 0x7f800000
	v_cmp_nlt_f32_e32 vcc, s3, v4
	s_nop 1
	v_cndmask_b32_e32 v4, v17, v5, vcc
	v_ldexp_f32 v5, v15, v16
	v_cmp_ngt_f32_e32 vcc, s1, v1
	s_nop 1
	v_cndmask_b32_e32 v5, 0, v5, vcc
	v_cmp_nlt_f32_e32 vcc, s3, v1
	s_nop 1
	v_cndmask_b32_e32 v5, v17, v5, vcc
	v_add_f32_e32 v1, v4, v5
	ds_bpermute_b32 v6, v6, v1
	s_waitcnt lgkmcnt(0)
	v_add_f32_e32 v1, v1, v6
	ds_bpermute_b32 v6, v7, v1
	s_waitcnt lgkmcnt(0)
	;; [unrolled: 3-line block ×5, first 2 shown]
	v_add_f32_e32 v1, v1, v6
	v_div_scale_f32 v6, s[0:1], v1, v1, 1.0
	v_rcp_f32_e32 v7, v6
	v_div_scale_f32 v12, vcc, 1.0, v1, 1.0
	v_fma_f32 v13, -v6, v7, 1.0
	v_fmac_f32_e32 v7, v13, v7
	v_mul_f32_e32 v13, v12, v7
	v_fma_f32 v14, -v6, v13, v12
	v_fmac_f32_e32 v13, v14, v7
	v_fma_f32 v6, -v6, v13, v12
	v_div_fmas_f32 v6, v6, v7, v13
	v_div_fixup_f32 v6, v6, v1, 1.0
	v_pk_mul_f32 v[4:5], v[4:5], v[6:7] op_sel_hi:[1,0]
	s_cbranch_execz .LBB6_5
	s_branch .LBB6_6
.LBB6_4:
                                        ; implicit-def: $vgpr5
.LBB6_5:
	s_waitcnt vmcnt(1)
	v_mul_f32_e32 v1, 0xbfb8aa3b, v10
	s_mov_b32 s0, 0xbfb8aa3b
	v_rndne_f32_e32 v4, v1
	v_sub_f32_e32 v5, v1, v4
	v_fma_f32 v1, v10, s0, -v1
	v_fmac_f32_e32 v1, 0xb2a5705f, v10
	v_add_f32_e32 v1, v5, v1
	v_exp_f32_e32 v1, v1
	v_cvt_i32_f32_e32 v4, v4
	s_mov_b32 s1, 0x42ce8ed0
	v_cmp_nlt_f32_e32 vcc, s1, v10
	s_mov_b32 s3, 0xc2b17218
	v_ldexp_f32 v1, v1, v4
	s_waitcnt vmcnt(0)
	v_mul_f32_e32 v4, 0xbfb8aa3b, v11
	v_rndne_f32_e32 v5, v4
	v_sub_f32_e32 v6, v4, v5
	v_fma_f32 v4, v11, s0, -v4
	v_fmac_f32_e32 v4, 0xb2a5705f, v11
	v_add_f32_e32 v4, v6, v4
	v_exp_f32_e32 v6, v4
	v_cvt_i32_f32_e32 v5, v5
	v_cndmask_b32_e32 v1, 0, v1, vcc
	v_mov_b32_e32 v7, 0x7f800000
	v_cmp_ngt_f32_e32 vcc, s3, v10
	s_nop 1
	v_cndmask_b32_e32 v4, v7, v1, vcc
	v_ldexp_f32 v1, v6, v5
	v_cmp_nlt_f32_e32 vcc, s1, v11
	s_nop 1
	v_cndmask_b32_e32 v1, 0, v1, vcc
	v_cmp_ngt_f32_e32 vcc, s3, v11
	s_nop 1
	v_cndmask_b32_e32 v5, v7, v1, vcc
	v_pk_add_f32 v[4:5], v[4:5], 1.0 op_sel_hi:[1,0]
	s_nop 0
	v_div_scale_f32 v1, s[0:1], v4, v4, 1.0
	v_rcp_f32_e32 v6, v1
	s_nop 0
	v_fma_f32 v7, -v1, v6, 1.0
	v_fmac_f32_e32 v6, v7, v6
	v_div_scale_f32 v7, vcc, 1.0, v4, 1.0
	v_mul_f32_e32 v10, v7, v6
	v_fma_f32 v11, -v1, v10, v7
	v_fmac_f32_e32 v10, v11, v6
	v_fma_f32 v1, -v1, v10, v7
	v_div_scale_f32 v7, s[0:1], v5, v5, 1.0
	v_rcp_f32_e32 v11, v7
	v_div_fmas_f32 v1, v1, v6, v10
	v_div_fixup_f32 v4, v1, v4, 1.0
	v_fma_f32 v1, -v7, v11, 1.0
	v_fmac_f32_e32 v11, v1, v11
	v_div_scale_f32 v1, vcc, 1.0, v5, 1.0
	v_mul_f32_e32 v6, v1, v11
	v_fma_f32 v10, -v7, v6, v1
	v_fmac_f32_e32 v6, v10, v11
	v_fma_f32 v1, -v7, v6, v1
	v_div_fmas_f32 v1, v1, v11, v6
	v_div_fixup_f32 v5, v1, v5, 1.0
.LBB6_6:
	s_waitcnt vmcnt(1)
	v_mov_b32_e32 v10, v4
	s_waitcnt vmcnt(0)
	v_mov_b32_e32 v11, v5
.LBB6_7:
	s_lshr_b32 s2, s2, 8
	s_cmp_gt_i32 s13, 0
	s_cbranch_scc1 .LBB6_9
; %bb.8:
	s_bitcmp1_b32 s2, 0
	s_mov_b64 s[0:1], 0
	s_cselect_b64 s[16:17], -1, 0
	s_branch .LBB6_10
.LBB6_9:
	s_mov_b64 s[0:1], -1
                                        ; implicit-def: $sgpr16_sgpr17
.LBB6_10:
	v_add_u32_e32 v15, 32, v2
	s_mov_b32 s12, 0
	s_andn2_b64 vcc, exec, s[0:1]
	v_mbcnt_lo_u32_b32 v1, -1, 0
	s_cbranch_vccnz .LBB6_33
; %bb.11:
	global_load_dword v12, v0, s[10:11]
	global_load_dword v13, v0, s[10:11] offset:128
	v_mov_b32_e32 v5, 0xff7fffff
	s_waitcnt vmcnt(3)
	v_cmp_o_f32_e32 vcc, v10, v10
	v_mbcnt_hi_u32_b32 v14, -1, v1
	v_mov_b32_e32 v16, s8
	v_cndmask_b32_e32 v10, v5, v10, vcc
	s_waitcnt vmcnt(2)
	v_cmp_o_f32_e32 vcc, v11, v11
	v_mov_b32_e32 v17, s9
	v_lshl_add_u64 v[8:9], v[8:9], 2, v[16:17]
	v_cndmask_b32_e32 v11, v5, v11, vcc
	v_and_b32_e32 v5, 0x60, v14
	v_xor_b32_e32 v16, 16, v14
	v_add_u32_e32 v5, 32, v5
	v_xor_b32_e32 v17, 8, v14
	v_cmp_lt_i32_e32 vcc, v16, v5
	v_xor_b32_e32 v18, 4, v14
	v_xor_b32_e32 v19, 2, v14
	v_cndmask_b32_e32 v16, v14, v16, vcc
	v_cmp_lt_i32_e32 vcc, v17, v5
	v_xor_b32_e32 v20, 1, v14
	s_bitcmp1_b32 s2, 0
	v_cndmask_b32_e32 v17, v14, v17, vcc
	v_cmp_lt_i32_e32 vcc, v18, v5
	v_mov_b32_e32 v6, 0
	v_mov_b32_e32 v7, 0xff800000
	v_cndmask_b32_e32 v18, v14, v18, vcc
	v_cmp_lt_i32_e32 vcc, v19, v5
	v_mov_b32_e32 v4, 0
	s_cselect_b64 s[16:17], -1, 0
	v_cndmask_b32_e32 v22, v14, v19, vcc
	v_cmp_lt_i32_e32 vcc, v20, v5
	v_lshlrev_b32_e32 v19, 2, v16
	v_lshlrev_b32_e32 v21, 2, v18
	v_cndmask_b32_e32 v5, v14, v20, vcc
	v_lshlrev_b32_e32 v20, 2, v17
	v_lshlrev_b32_e32 v22, 2, v22
	;; [unrolled: 1-line block ×3, first 2 shown]
	v_mov_b32_e32 v5, 0
	s_waitcnt vmcnt(0)
	v_pk_add_f32 v[12:13], v[10:11], v[12:13]
	s_branch .LBB6_13
.LBB6_12:                               ;   in Loop: Header=BB6_13 Depth=1
	s_or_b64 exec, exec, s[2:3]
	s_and_b32 s0, s12, 31
	s_lshr_b32 s1, s12, 5
	s_cmp_eq_u32 s1, 0
	s_cselect_b64 vcc, -1, 0
	s_cmp_eq_u32 s1, 1
	v_cndmask_b32_e32 v14, v4, v16, vcc
	s_cselect_b64 vcc, -1, 0
	v_cndmask_b32_e32 v16, v5, v16, vcc
	v_cmp_eq_u32_e32 vcc, s0, v2
	s_add_i32 s12, s12, 1
	s_cmp_eq_u32 s13, s12
	v_cndmask_b32_e32 v5, v5, v16, vcc
	v_cndmask_b32_e32 v4, v4, v14, vcc
	v_lshl_add_u64 v[8:9], v[8:9], 0, 4
	s_cbranch_scc1 .LBB6_34
.LBB6_13:                               ; =>This Inner Loop Header: Depth=1
	v_cmp_gt_f32_e32 vcc, v13, v12
	s_nop 1
	v_cndmask_b32_e32 v24, v12, v13, vcc
	v_cndmask_b32_e32 v25, v2, v15, vcc
	;; [unrolled: 1-line block ×3, first 2 shown]
	ds_bpermute_b32 v27, v19, v24
	ds_bpermute_b32 v26, v19, v25
	;; [unrolled: 1-line block ×3, first 2 shown]
	s_waitcnt lgkmcnt(2)
	v_cmp_lt_f32_e64 s[2:3], v24, v27
	v_cmp_nlt_f32_e32 vcc, v24, v27
	s_and_saveexec_b64 s[8:9], vcc
	s_cbranch_execz .LBB6_15
; %bb.14:                               ;   in Loop: Header=BB6_13 Depth=1
	v_cmp_eq_f32_e32 vcc, v24, v27
	s_waitcnt lgkmcnt(1)
	v_cmp_lt_i32_e64 s[0:1], v26, v25
	s_and_b64 s[0:1], vcc, s[0:1]
	s_andn2_b64 s[2:3], s[2:3], exec
	s_and_b64 s[0:1], s[0:1], exec
	s_or_b64 s[2:3], s[2:3], s[0:1]
.LBB6_15:                               ;   in Loop: Header=BB6_13 Depth=1
	s_or_b64 exec, exec, s[8:9]
	v_mov_b64_e32 v[16:17], v[14:15]
	s_and_saveexec_b64 s[0:1], s[2:3]
	s_cbranch_execz .LBB6_17
; %bb.16:                               ;   in Loop: Header=BB6_13 Depth=1
	v_mov_b32_e32 v24, v27
	s_waitcnt lgkmcnt(0)
	v_mov_b32_e32 v14, v18
	v_mov_b32_e32 v25, v26
	v_mov_b64_e32 v[16:17], v[18:19]
.LBB6_17:                               ;   in Loop: Header=BB6_13 Depth=1
	s_or_b64 exec, exec, s[0:1]
	s_waitcnt lgkmcnt(1)
	ds_bpermute_b32 v26, v20, v24
	s_waitcnt lgkmcnt(1)
	ds_bpermute_b32 v18, v20, v14
	ds_bpermute_b32 v17, v20, v25
	s_waitcnt lgkmcnt(2)
	v_cmp_lt_f32_e64 s[2:3], v24, v26
	v_cmp_nlt_f32_e32 vcc, v24, v26
	s_and_saveexec_b64 s[8:9], vcc
	s_cbranch_execz .LBB6_19
; %bb.18:                               ;   in Loop: Header=BB6_13 Depth=1
	v_cmp_eq_f32_e32 vcc, v24, v26
	s_waitcnt lgkmcnt(0)
	v_cmp_lt_i32_e64 s[0:1], v17, v25
	s_and_b64 s[0:1], vcc, s[0:1]
	s_andn2_b64 s[2:3], s[2:3], exec
	s_and_b64 s[0:1], s[0:1], exec
	s_or_b64 s[2:3], s[2:3], s[0:1]
.LBB6_19:                               ;   in Loop: Header=BB6_13 Depth=1
	s_or_b64 exec, exec, s[8:9]
	s_and_saveexec_b64 s[0:1], s[2:3]
	s_cbranch_execz .LBB6_21
; %bb.20:                               ;   in Loop: Header=BB6_13 Depth=1
	v_mov_b32_e32 v24, v26
	s_waitcnt lgkmcnt(1)
	v_mov_b32_e32 v14, v18
	s_waitcnt lgkmcnt(0)
	v_mov_b32_e32 v25, v17
	v_mov_b64_e32 v[16:17], v[18:19]
.LBB6_21:                               ;   in Loop: Header=BB6_13 Depth=1
	s_or_b64 exec, exec, s[0:1]
	ds_bpermute_b32 v26, v21, v24
	s_waitcnt lgkmcnt(2)
	ds_bpermute_b32 v18, v21, v14
	s_waitcnt lgkmcnt(2)
	ds_bpermute_b32 v17, v21, v25
	s_waitcnt lgkmcnt(2)
	v_cmp_lt_f32_e64 s[2:3], v24, v26
	v_cmp_nlt_f32_e32 vcc, v24, v26
	s_and_saveexec_b64 s[8:9], vcc
	s_cbranch_execz .LBB6_23
; %bb.22:                               ;   in Loop: Header=BB6_13 Depth=1
	v_cmp_eq_f32_e32 vcc, v24, v26
	s_waitcnt lgkmcnt(0)
	v_cmp_lt_i32_e64 s[0:1], v17, v25
	s_and_b64 s[0:1], vcc, s[0:1]
	s_andn2_b64 s[2:3], s[2:3], exec
	s_and_b64 s[0:1], s[0:1], exec
	s_or_b64 s[2:3], s[2:3], s[0:1]
.LBB6_23:                               ;   in Loop: Header=BB6_13 Depth=1
	s_or_b64 exec, exec, s[8:9]
	s_and_saveexec_b64 s[0:1], s[2:3]
	s_cbranch_execz .LBB6_25
; %bb.24:                               ;   in Loop: Header=BB6_13 Depth=1
	v_mov_b32_e32 v24, v26
	s_waitcnt lgkmcnt(1)
	v_mov_b32_e32 v14, v18
	s_waitcnt lgkmcnt(0)
	v_mov_b32_e32 v25, v17
	v_mov_b64_e32 v[16:17], v[18:19]
.LBB6_25:                               ;   in Loop: Header=BB6_13 Depth=1
	s_or_b64 exec, exec, s[0:1]
	ds_bpermute_b32 v26, v22, v24
	s_waitcnt lgkmcnt(2)
	ds_bpermute_b32 v18, v22, v14
	s_waitcnt lgkmcnt(2)
	;; [unrolled: 2-line block ×3, first 2 shown]
	v_cmp_lt_f32_e64 s[2:3], v24, v26
	v_cmp_nlt_f32_e32 vcc, v24, v26
	s_and_saveexec_b64 s[8:9], vcc
	s_cbranch_execz .LBB6_27
; %bb.26:                               ;   in Loop: Header=BB6_13 Depth=1
	v_cmp_eq_f32_e32 vcc, v24, v26
	s_waitcnt lgkmcnt(0)
	v_cmp_lt_i32_e64 s[0:1], v17, v25
	s_and_b64 s[0:1], vcc, s[0:1]
	s_andn2_b64 s[2:3], s[2:3], exec
	s_and_b64 s[0:1], s[0:1], exec
	s_or_b64 s[2:3], s[2:3], s[0:1]
.LBB6_27:                               ;   in Loop: Header=BB6_13 Depth=1
	s_or_b64 exec, exec, s[8:9]
	s_and_saveexec_b64 s[0:1], s[2:3]
	s_cbranch_execz .LBB6_29
; %bb.28:                               ;   in Loop: Header=BB6_13 Depth=1
	v_mov_b32_e32 v24, v26
	s_waitcnt lgkmcnt(1)
	v_mov_b32_e32 v14, v18
	s_waitcnt lgkmcnt(0)
	v_mov_b32_e32 v25, v17
	v_mov_b64_e32 v[16:17], v[18:19]
.LBB6_29:                               ;   in Loop: Header=BB6_13 Depth=1
	s_or_b64 exec, exec, s[0:1]
	s_waitcnt lgkmcnt(1)
	ds_bpermute_b32 v18, v23, v24
	ds_bpermute_b32 v26, v23, v25
	s_waitcnt lgkmcnt(2)
	ds_bpermute_b32 v17, v23, v14
	s_waitcnt lgkmcnt(2)
	v_cmp_eq_f32_e64 s[0:1], v24, v18
	s_waitcnt lgkmcnt(1)
	v_cmp_lt_i32_e64 s[2:3], v26, v25
	v_cmp_lt_f32_e32 vcc, v24, v18
	s_and_b64 s[0:1], s[0:1], s[2:3]
	s_or_b64 vcc, vcc, s[0:1]
	v_cndmask_b32_e32 v14, v25, v26, vcc
	v_and_b32_e32 v18, 31, v14
	v_cmp_eq_u32_e64 s[0:1], v18, v2
	s_and_saveexec_b64 s[8:9], s[0:1]
; %bb.30:                               ;   in Loop: Header=BB6_13 Depth=1
	v_ashrrev_i32_e32 v18, 31, v14
	v_lshrrev_b32_e32 v18, 27, v18
	v_add_u32_e32 v18, v14, v18
	v_ashrrev_i32_e32 v18, 5, v18
	v_cmp_ne_u32_e64 s[2:3], 1, v18
	s_nop 1
	v_cndmask_b32_e64 v13, v7, v13, s[2:3]
	v_cmp_ne_u32_e64 s[2:3], 0, v18
	s_nop 1
	v_cndmask_b32_e64 v12, v7, v12, s[2:3]
; %bb.31:                               ;   in Loop: Header=BB6_13 Depth=1
	s_or_b64 exec, exec, s[8:9]
	s_waitcnt lgkmcnt(0)
	v_cndmask_b32_e32 v16, v16, v17, vcc
	s_and_saveexec_b64 s[2:3], s[0:1]
	s_cbranch_execz .LBB6_12
; %bb.32:                               ;   in Loop: Header=BB6_13 Depth=1
	v_add_f32_e32 v17, v6, v16
	v_cndmask_b32_e64 v6, v6, v17, s[16:17]
	global_store_dword v[8:9], v14, off
	s_branch .LBB6_12
.LBB6_33:
	v_mov_b32_e32 v6, 0
	v_mov_b32_e32 v7, v6
	v_mov_b64_e32 v[4:5], v[6:7]
.LBB6_34:
	s_and_b64 vcc, exec, s[16:17]
	s_cbranch_vccz .LBB6_36
; %bb.35:
	v_mbcnt_hi_u32_b32 v7, -1, v1
	v_and_b32_e32 v8, 0x60, v7
	v_add_u32_e32 v8, 32, v8
	v_xor_b32_e32 v9, 16, v7
	v_cmp_lt_i32_e32 vcc, v9, v8
	s_waitcnt vmcnt(1)
	v_xor_b32_e32 v10, 8, v7
	v_cndmask_b32_e32 v9, v7, v9, vcc
	v_lshlrev_b32_e32 v9, 2, v9
	ds_bpermute_b32 v9, v9, v6
	v_cmp_lt_i32_e32 vcc, v10, v8
	s_waitcnt lgkmcnt(0)
	v_add_f32_e32 v6, v6, v9
	v_cndmask_b32_e32 v9, v7, v10, vcc
	v_lshlrev_b32_e32 v9, 2, v9
	ds_bpermute_b32 v9, v9, v6
	v_xor_b32_e32 v10, 4, v7
	v_cmp_lt_i32_e32 vcc, v10, v8
	s_waitcnt lgkmcnt(0)
	v_add_f32_e32 v6, v6, v9
	v_cndmask_b32_e32 v9, v7, v10, vcc
	v_lshlrev_b32_e32 v9, 2, v9
	ds_bpermute_b32 v9, v9, v6
	v_xor_b32_e32 v10, 2, v7
	;; [unrolled: 7-line block ×3, first 2 shown]
	v_cmp_lt_i32_e32 vcc, v10, v8
	v_max_f32_e64 v8, s14, s14
	s_waitcnt lgkmcnt(0)
	v_add_f32_e32 v6, v6, v9
	v_cndmask_b32_e32 v7, v7, v10, vcc
	v_lshlrev_b32_e32 v7, 2, v7
	ds_bpermute_b32 v7, v7, v6
	s_waitcnt lgkmcnt(0)
	v_add_f32_e32 v6, v6, v7
	v_max_f32_e32 v6, v6, v8
	v_div_scale_f32 v7, s[0:1], v6, v6, 1.0
	v_rcp_f32_e32 v8, v7
	v_div_scale_f32 v9, vcc, 1.0, v6, 1.0
	v_fma_f32 v10, -v7, v8, 1.0
	v_fmac_f32_e32 v8, v10, v8
	v_mul_f32_e32 v10, v9, v8
	s_waitcnt vmcnt(0)
	v_fma_f32 v11, -v7, v10, v9
	v_fmac_f32_e32 v10, v11, v8
	v_fma_f32 v7, -v7, v10, v9
	v_div_fmas_f32 v7, v7, v8, v10
	v_div_fixup_f32 v6, v7, v6, 1.0
	v_pk_mul_f32 v[4:5], v[6:7], v[4:5] op_sel_hi:[0,1]
.LBB6_36:
	s_andn2_b64 vcc, exec, s[4:5]
	v_cmp_gt_i32_e64 s[0:1], s13, v15
	s_cbranch_vccnz .LBB6_38
; %bb.37:
	v_max_f32_e32 v6, v4, v4
	v_max_f32_e32 v6, 0xff800000, v6
	v_mov_b32_e32 v7, 0xff800000
	v_cmp_gt_i32_e64 s[2:3], s13, v2
	v_mbcnt_hi_u32_b32 v1, -1, v1
	v_xor_b32_e32 v8, 16, v1
	v_cndmask_b32_e64 v6, v7, v6, s[2:3]
	v_max_f32_e32 v7, v5, v5
	v_max_f32_e32 v7, v6, v7
	v_cndmask_b32_e64 v6, v6, v7, s[0:1]
	v_and_b32_e32 v7, 0x60, v1
	v_add_u32_e32 v7, 32, v7
	v_cmp_lt_i32_e32 vcc, v8, v7
	s_mov_b32 s4, 0x3fb8aa3b
	s_mov_b32 s5, 0xc2ce8ed0
	v_cndmask_b32_e32 v8, v1, v8, vcc
	v_lshlrev_b32_e32 v8, 2, v8
	ds_bpermute_b32 v9, v8, v6
	s_mov_b32 s8, 0x42b17218
	s_waitcnt lgkmcnt(0)
	v_max_f32_e32 v9, v9, v9
	v_max_f32_e32 v6, v6, v9
	v_xor_b32_e32 v9, 8, v1
	v_cmp_lt_i32_e32 vcc, v9, v7
	s_nop 1
	v_cndmask_b32_e32 v9, v1, v9, vcc
	v_lshlrev_b32_e32 v9, 2, v9
	s_waitcnt vmcnt(1)
	ds_bpermute_b32 v10, v9, v6
	s_waitcnt lgkmcnt(0)
	v_max_f32_e32 v10, v10, v10
	v_max_f32_e32 v6, v6, v10
	v_xor_b32_e32 v10, 4, v1
	v_cmp_lt_i32_e32 vcc, v10, v7
	s_nop 1
	v_cndmask_b32_e32 v10, v1, v10, vcc
	v_lshlrev_b32_e32 v10, 2, v10
	s_waitcnt vmcnt(0)
	ds_bpermute_b32 v11, v10, v6
	s_waitcnt lgkmcnt(0)
	v_max_f32_e32 v11, v11, v11
	v_max_f32_e32 v6, v6, v11
	v_xor_b32_e32 v11, 2, v1
	v_cmp_lt_i32_e32 vcc, v11, v7
	s_nop 1
	v_cndmask_b32_e32 v11, v1, v11, vcc
	v_lshlrev_b32_e32 v11, 2, v11
	ds_bpermute_b32 v12, v11, v6
	s_waitcnt lgkmcnt(0)
	v_max_f32_e32 v12, v12, v12
	v_max_f32_e32 v6, v6, v12
	v_xor_b32_e32 v12, 1, v1
	v_cmp_lt_i32_e32 vcc, v12, v7
	s_nop 1
	v_cndmask_b32_e32 v1, v1, v12, vcc
	v_lshlrev_b32_e32 v1, 2, v1
	ds_bpermute_b32 v7, v1, v6
	s_waitcnt lgkmcnt(0)
	v_max_f32_e32 v7, v7, v7
	v_max_f32_e32 v6, v6, v7
	v_sub_f32_e32 v4, v4, v6
	v_mul_f32_e32 v7, 0x3fb8aa3b, v4
	v_fma_f32 v12, v4, s4, -v7
	v_rndne_f32_e32 v13, v7
	v_sub_f32_e32 v5, v5, v6
	v_fmac_f32_e32 v12, 0x32a5705f, v4
	v_sub_f32_e32 v7, v7, v13
	v_mul_f32_e32 v6, 0x3fb8aa3b, v5
	v_add_f32_e32 v7, v7, v12
	v_cvt_i32_f32_e32 v12, v13
	v_fma_f32 v13, v5, s4, -v6
	v_rndne_f32_e32 v14, v6
	v_exp_f32_e32 v7, v7
	v_fmac_f32_e32 v13, 0x32a5705f, v5
	v_sub_f32_e32 v6, v6, v14
	v_add_f32_e32 v6, v6, v13
	v_exp_f32_e32 v6, v6
	v_cvt_i32_f32_e32 v13, v14
	v_ldexp_f32 v7, v7, v12
	v_cmp_ngt_f32_e32 vcc, s5, v4
	v_mov_b32_e32 v12, 0x7f800000
	v_ldexp_f32 v6, v6, v13
	v_cndmask_b32_e32 v7, 0, v7, vcc
	v_cmp_nlt_f32_e32 vcc, s8, v4
	s_nop 1
	v_cndmask_b32_e32 v4, v12, v7, vcc
	v_cmp_ngt_f32_e32 vcc, s5, v5
	v_cndmask_b32_e64 v4, 0, v4, s[2:3]
	s_nop 0
	v_cndmask_b32_e32 v6, 0, v6, vcc
	v_cmp_nlt_f32_e32 vcc, s8, v5
	s_nop 1
	v_cndmask_b32_e32 v5, v12, v6, vcc
	v_add_f32_e32 v6, v5, v4
	v_cndmask_b32_e64 v6, v4, v6, s[0:1]
	ds_bpermute_b32 v7, v8, v6
	v_cndmask_b32_e64 v5, 0, v5, s[0:1]
	s_waitcnt lgkmcnt(0)
	v_add_f32_e32 v6, v6, v7
	ds_bpermute_b32 v7, v9, v6
	s_waitcnt lgkmcnt(0)
	v_add_f32_e32 v6, v6, v7
	ds_bpermute_b32 v7, v10, v6
	;; [unrolled: 3-line block ×4, first 2 shown]
	s_waitcnt lgkmcnt(0)
	v_add_f32_e32 v1, v6, v1
	v_div_scale_f32 v6, s[4:5], v1, v1, 1.0
	v_rcp_f32_e32 v7, v6
	s_nop 0
	v_fma_f32 v8, -v6, v7, 1.0
	v_fmac_f32_e32 v7, v8, v7
	v_div_scale_f32 v8, vcc, 1.0, v1, 1.0
	v_mul_f32_e32 v9, v8, v7
	v_fma_f32 v10, -v6, v9, v8
	v_fmac_f32_e32 v9, v10, v7
	v_fma_f32 v6, -v6, v9, v8
	v_div_fmas_f32 v6, v6, v7, v9
	v_div_fixup_f32 v1, v6, v1, 1.0
	v_mul_f32_e32 v6, v4, v1
	v_mul_f32_e32 v1, v5, v1
	v_cndmask_b32_e64 v4, v4, v6, s[2:3]
	v_cndmask_b32_e64 v5, v5, v1, s[0:1]
.LBB6_38:
	v_mul_lo_u32 v8, v3, s13
	v_mov_b32_e32 v6, s6
	v_mov_b32_e32 v7, s7
	v_ashrrev_i32_e32 v9, 31, v8
	v_lshl_add_u64 v[6:7], v[8:9], 2, v[6:7]
	v_cmp_gt_i32_e32 vcc, s13, v2
	s_and_saveexec_b64 s[0:1], vcc
	s_cbranch_execz .LBB6_40
; %bb.39:
	v_mov_b32_e32 v1, 0
	v_lshl_add_u64 v[2:3], v[6:7], 0, v[0:1]
	v_mul_f32_e32 v1, s15, v4
	global_store_dword v[2:3], v1, off
.LBB6_40:
	s_or_b64 exec, exec, s[0:1]
	v_cmp_gt_i32_e32 vcc, s13, v15
	s_and_b64 exec, exec, vcc
	s_cbranch_execz .LBB6_42
; %bb.41:
	v_mov_b32_e32 v1, 0
	v_lshl_add_u64 v[0:1], v[6:7], 0, v[0:1]
	v_mul_f32_e32 v2, s15, v5
	global_store_dword v[0:1], v2, off offset:128
.LBB6_42:
	s_endpgm
	.section	.rodata,"a",@progbits
	.p2align	6, 0x0
	.amdhsa_kernel _Z13topk_moe_cudaILi64ELb1EEvPKfPfPiS2_iiff15topk_moe_config
		.amdhsa_group_segment_fixed_size 0
		.amdhsa_private_segment_fixed_size 0
		.amdhsa_kernarg_size 312
		.amdhsa_user_sgpr_count 2
		.amdhsa_user_sgpr_dispatch_ptr 0
		.amdhsa_user_sgpr_queue_ptr 0
		.amdhsa_user_sgpr_kernarg_segment_ptr 1
		.amdhsa_user_sgpr_dispatch_id 0
		.amdhsa_user_sgpr_kernarg_preload_length 0
		.amdhsa_user_sgpr_kernarg_preload_offset 0
		.amdhsa_user_sgpr_private_segment_size 0
		.amdhsa_uses_dynamic_stack 0
		.amdhsa_enable_private_segment 0
		.amdhsa_system_sgpr_workgroup_id_x 1
		.amdhsa_system_sgpr_workgroup_id_y 0
		.amdhsa_system_sgpr_workgroup_id_z 0
		.amdhsa_system_sgpr_workgroup_info 0
		.amdhsa_system_vgpr_workitem_id 1
		.amdhsa_next_free_vgpr 28
		.amdhsa_next_free_sgpr 18
		.amdhsa_accum_offset 28
		.amdhsa_reserve_vcc 1
		.amdhsa_float_round_mode_32 0
		.amdhsa_float_round_mode_16_64 0
		.amdhsa_float_denorm_mode_32 3
		.amdhsa_float_denorm_mode_16_64 3
		.amdhsa_dx10_clamp 1
		.amdhsa_ieee_mode 1
		.amdhsa_fp16_overflow 0
		.amdhsa_tg_split 0
		.amdhsa_exception_fp_ieee_invalid_op 0
		.amdhsa_exception_fp_denorm_src 0
		.amdhsa_exception_fp_ieee_div_zero 0
		.amdhsa_exception_fp_ieee_overflow 0
		.amdhsa_exception_fp_ieee_underflow 0
		.amdhsa_exception_fp_ieee_inexact 0
		.amdhsa_exception_int_div_zero 0
	.end_amdhsa_kernel
	.section	.text._Z13topk_moe_cudaILi64ELb1EEvPKfPfPiS2_iiff15topk_moe_config,"axG",@progbits,_Z13topk_moe_cudaILi64ELb1EEvPKfPfPiS2_iiff15topk_moe_config,comdat
.Lfunc_end6:
	.size	_Z13topk_moe_cudaILi64ELb1EEvPKfPfPiS2_iiff15topk_moe_config, .Lfunc_end6-_Z13topk_moe_cudaILi64ELb1EEvPKfPfPiS2_iiff15topk_moe_config
                                        ; -- End function
	.set _Z13topk_moe_cudaILi64ELb1EEvPKfPfPiS2_iiff15topk_moe_config.num_vgpr, 28
	.set _Z13topk_moe_cudaILi64ELb1EEvPKfPfPiS2_iiff15topk_moe_config.num_agpr, 0
	.set _Z13topk_moe_cudaILi64ELb1EEvPKfPfPiS2_iiff15topk_moe_config.numbered_sgpr, 18
	.set _Z13topk_moe_cudaILi64ELb1EEvPKfPfPiS2_iiff15topk_moe_config.num_named_barrier, 0
	.set _Z13topk_moe_cudaILi64ELb1EEvPKfPfPiS2_iiff15topk_moe_config.private_seg_size, 0
	.set _Z13topk_moe_cudaILi64ELb1EEvPKfPfPiS2_iiff15topk_moe_config.uses_vcc, 1
	.set _Z13topk_moe_cudaILi64ELb1EEvPKfPfPiS2_iiff15topk_moe_config.uses_flat_scratch, 0
	.set _Z13topk_moe_cudaILi64ELb1EEvPKfPfPiS2_iiff15topk_moe_config.has_dyn_sized_stack, 0
	.set _Z13topk_moe_cudaILi64ELb1EEvPKfPfPiS2_iiff15topk_moe_config.has_recursion, 0
	.set _Z13topk_moe_cudaILi64ELb1EEvPKfPfPiS2_iiff15topk_moe_config.has_indirect_call, 0
	.section	.AMDGPU.csdata,"",@progbits
; Kernel info:
; codeLenInByte = 3300
; TotalNumSgprs: 24
; NumVgprs: 28
; NumAgprs: 0
; TotalNumVgprs: 28
; ScratchSize: 0
; MemoryBound: 0
; FloatMode: 240
; IeeeMode: 1
; LDSByteSize: 0 bytes/workgroup (compile time only)
; SGPRBlocks: 2
; VGPRBlocks: 3
; NumSGPRsForWavesPerEU: 24
; NumVGPRsForWavesPerEU: 28
; AccumOffset: 28
; Occupancy: 8
; WaveLimiterHint : 1
; COMPUTE_PGM_RSRC2:SCRATCH_EN: 0
; COMPUTE_PGM_RSRC2:USER_SGPR: 2
; COMPUTE_PGM_RSRC2:TRAP_HANDLER: 0
; COMPUTE_PGM_RSRC2:TGID_X_EN: 1
; COMPUTE_PGM_RSRC2:TGID_Y_EN: 0
; COMPUTE_PGM_RSRC2:TGID_Z_EN: 0
; COMPUTE_PGM_RSRC2:TIDIG_COMP_CNT: 1
; COMPUTE_PGM_RSRC3_GFX90A:ACCUM_OFFSET: 6
; COMPUTE_PGM_RSRC3_GFX90A:TG_SPLIT: 0
	.section	.text._Z13topk_moe_cudaILi128ELb1EEvPKfPfPiS2_iiff15topk_moe_config,"axG",@progbits,_Z13topk_moe_cudaILi128ELb1EEvPKfPfPiS2_iiff15topk_moe_config,comdat
	.protected	_Z13topk_moe_cudaILi128ELb1EEvPKfPfPiS2_iiff15topk_moe_config ; -- Begin function _Z13topk_moe_cudaILi128ELb1EEvPKfPfPiS2_iiff15topk_moe_config
	.globl	_Z13topk_moe_cudaILi128ELb1EEvPKfPfPiS2_iiff15topk_moe_config
	.p2align	8
	.type	_Z13topk_moe_cudaILi128ELb1EEvPKfPfPiS2_iiff15topk_moe_config,@function
_Z13topk_moe_cudaILi128ELb1EEvPKfPfPiS2_iiff15topk_moe_config: ; @_Z13topk_moe_cudaILi128ELb1EEvPKfPfPiS2_iiff15topk_moe_config
; %bb.0:
	s_load_dword s3, s[0:1], 0x44
	s_load_dwordx4 s[16:19], s[0:1], 0x20
	v_bfe_u32 v1, v0, 10, 10
	s_waitcnt lgkmcnt(0)
	s_lshr_b32 s3, s3, 16
	s_mul_i32 s2, s2, s3
	v_add_u32_e32 v18, s2, v1
	v_cmp_gt_i32_e32 vcc, s16, v18
	s_and_saveexec_b64 s[2:3], vcc
	s_cbranch_execz .LBB7_47
; %bb.1:
	s_load_dwordx8 s[8:15], s[0:1], 0x0
	v_mov_b32_e32 v9, 0
	v_lshlrev_b32_e32 v6, 7, v18
	global_load_ushort v1, v9, s[0:1] offset:48
	v_ashrrev_i32_e32 v7, 31, v6
	s_waitcnt lgkmcnt(0)
	v_mov_b32_e32 v2, s8
	v_mov_b32_e32 v3, s9
	v_and_b32_e32 v19, 0x3ff, v0
	v_lshl_add_u64 v[2:3], v[6:7], 2, v[2:3]
	v_lshlrev_b32_e32 v8, 2, v19
	v_lshl_add_u64 v[2:3], v[2:3], 0, v[8:9]
	global_load_dword v10, v[2:3], off
	global_load_dword v11, v[2:3], off offset:128
	global_load_dword v12, v[2:3], off offset:256
	;; [unrolled: 1-line block ×3, first 2 shown]
	s_load_dword s0, s[0:1], 0x30
	s_waitcnt vmcnt(4)
	v_readfirstlane_b32 s1, v1
	s_and_b32 s4, 0xffff, s1
	s_waitcnt lgkmcnt(0)
	s_bitcmp1_b32 s0, 16
	s_cselect_b64 s[2:3], -1, 0
	s_and_b64 vcc, exec, s[2:3]
	s_cbranch_vccnz .LBB7_7
; %bb.2:
	v_and_b32_e32 v0, 1, v1
	v_cmp_eq_u32_e32 vcc, 0, v0
	s_cbranch_vccz .LBB7_4
; %bb.3:
	v_mbcnt_lo_u32_b32 v1, -1, 0
	v_mbcnt_hi_u32_b32 v1, -1, v1
	v_and_b32_e32 v2, 0x60, v1
	v_add_u32_e32 v2, 32, v2
	v_xor_b32_e32 v3, 16, v1
	s_mov_b32 s0, 0xff800000
	v_cmp_lt_i32_e32 vcc, v3, v2
	s_waitcnt vmcnt(2)
	v_max3_f32 v0, v10, s0, v11
	s_waitcnt vmcnt(0)
	v_max3_f32 v0, v0, v12, v5
	v_cndmask_b32_e32 v3, v1, v3, vcc
	v_lshlrev_b32_e32 v4, 2, v3
	ds_bpermute_b32 v3, v4, v0
	s_mov_b32 s0, 0x3fb8aa3b
	s_mov_b32 s1, 0xc2ce8ed0
	;; [unrolled: 1-line block ×3, first 2 shown]
	s_waitcnt lgkmcnt(0)
	v_max_f32_e32 v3, v3, v3
	v_max_f32_e32 v0, v0, v3
	v_xor_b32_e32 v3, 8, v1
	v_cmp_lt_i32_e32 vcc, v3, v2
	s_nop 1
	v_cndmask_b32_e32 v3, v1, v3, vcc
	v_lshlrev_b32_e32 v9, 2, v3
	ds_bpermute_b32 v3, v9, v0
	s_waitcnt lgkmcnt(0)
	v_max_f32_e32 v3, v3, v3
	v_max_f32_e32 v0, v0, v3
	v_xor_b32_e32 v3, 4, v1
	v_cmp_lt_i32_e32 vcc, v3, v2
	s_nop 1
	v_cndmask_b32_e32 v3, v1, v3, vcc
	v_lshlrev_b32_e32 v13, 2, v3
	ds_bpermute_b32 v3, v13, v0
	;; [unrolled: 9-line block ×4, first 2 shown]
	s_waitcnt lgkmcnt(0)
	v_max_f32_e32 v1, v1, v1
	v_max_f32_e32 v2, v0, v1
	v_sub_f32_e32 v0, v10, v2
	v_mul_f32_e32 v1, 0x3fb8aa3b, v0
	v_fma_f32 v3, v0, s0, -v1
	v_rndne_f32_e32 v16, v1
	v_fmac_f32_e32 v3, 0x32a5705f, v0
	v_sub_f32_e32 v1, v1, v16
	v_add_f32_e32 v1, v1, v3
	v_exp_f32_e32 v1, v1
	v_cvt_i32_f32_e32 v3, v16
	v_cmp_ngt_f32_e32 vcc, s1, v0
	v_ldexp_f32 v1, v1, v3
	v_sub_f32_e32 v3, v11, v2
	v_mul_f32_e32 v16, 0x3fb8aa3b, v3
	v_fma_f32 v17, v3, s0, -v16
	v_rndne_f32_e32 v20, v16
	v_fmac_f32_e32 v17, 0x32a5705f, v3
	v_sub_f32_e32 v16, v16, v20
	v_add_f32_e32 v16, v16, v17
	v_exp_f32_e32 v16, v16
	v_cvt_i32_f32_e32 v17, v20
	v_cndmask_b32_e32 v1, 0, v1, vcc
	v_mov_b32_e32 v20, 0x7f800000
	v_cmp_nlt_f32_e32 vcc, s5, v0
	s_nop 1
	v_cndmask_b32_e32 v0, v20, v1, vcc
	v_ldexp_f32 v1, v16, v17
	v_sub_f32_e32 v16, v12, v2
	v_mul_f32_e32 v17, 0x3fb8aa3b, v16
	v_fma_f32 v21, v16, s0, -v17
	v_rndne_f32_e32 v22, v17
	v_fmac_f32_e32 v21, 0x32a5705f, v16
	v_sub_f32_e32 v17, v17, v22
	v_add_f32_e32 v17, v17, v21
	v_exp_f32_e32 v17, v17
	v_cvt_i32_f32_e32 v21, v22
	v_cmp_ngt_f32_e32 vcc, s1, v3
	v_ldexp_f32 v17, v17, v21
	v_sub_f32_e32 v21, v5, v2
	v_mul_f32_e32 v2, 0x3fb8aa3b, v21
	v_fma_f32 v22, v21, s0, -v2
	v_rndne_f32_e32 v23, v2
	v_fmac_f32_e32 v22, 0x32a5705f, v21
	v_sub_f32_e32 v2, v2, v23
	v_add_f32_e32 v2, v2, v22
	v_cndmask_b32_e32 v1, 0, v1, vcc
	v_cmp_nlt_f32_e32 vcc, s5, v3
	v_exp_f32_e32 v22, v2
	v_cvt_i32_f32_e32 v23, v23
	v_cndmask_b32_e32 v1, v20, v1, vcc
	v_cmp_ngt_f32_e32 vcc, s1, v16
	v_add_f32_e32 v3, v0, v1
	s_nop 0
	v_cndmask_b32_e32 v17, 0, v17, vcc
	v_cmp_nlt_f32_e32 vcc, s5, v16
	s_nop 1
	v_cndmask_b32_e32 v2, v20, v17, vcc
	v_add_f32_e32 v16, v2, v3
	v_ldexp_f32 v3, v22, v23
	v_cmp_ngt_f32_e32 vcc, s1, v21
	s_nop 1
	v_cndmask_b32_e32 v3, 0, v3, vcc
	v_cmp_nlt_f32_e32 vcc, s5, v21
	s_nop 1
	v_cndmask_b32_e32 v3, v20, v3, vcc
	v_add_f32_e32 v16, v3, v16
	ds_bpermute_b32 v4, v4, v16
	s_waitcnt lgkmcnt(0)
	v_add_f32_e32 v4, v16, v4
	ds_bpermute_b32 v9, v9, v4
	s_waitcnt lgkmcnt(0)
	;; [unrolled: 3-line block ×5, first 2 shown]
	v_add_f32_e32 v4, v4, v9
	v_div_scale_f32 v9, s[0:1], v4, v4, 1.0
	v_rcp_f32_e32 v13, v9
	s_nop 0
	v_fma_f32 v14, -v9, v13, 1.0
	v_fmac_f32_e32 v13, v14, v13
	v_div_scale_f32 v14, vcc, 1.0, v4, 1.0
	v_mul_f32_e32 v15, v14, v13
	v_fma_f32 v16, -v9, v15, v14
	v_fmac_f32_e32 v15, v16, v13
	v_fma_f32 v9, -v9, v15, v14
	v_div_fmas_f32 v9, v9, v13, v15
	v_div_fixup_f32 v4, v9, v4, 1.0
	v_pk_mul_f32 v[2:3], v[2:3], v[4:5] op_sel_hi:[1,0]
	v_pk_mul_f32 v[0:1], v[0:1], v[4:5] op_sel_hi:[1,0]
	s_cbranch_execz .LBB7_5
	s_branch .LBB7_6
.LBB7_4:
                                        ; implicit-def: $vgpr3
                                        ; implicit-def: $vgpr1
.LBB7_5:
	s_waitcnt vmcnt(3)
	v_mul_f32_e32 v0, 0xbfb8aa3b, v10
	s_mov_b32 s0, 0xbfb8aa3b
	v_rndne_f32_e32 v1, v0
	v_sub_f32_e32 v2, v0, v1
	v_fma_f32 v0, v10, s0, -v0
	v_fmac_f32_e32 v0, 0xb2a5705f, v10
	v_add_f32_e32 v0, v2, v0
	v_exp_f32_e32 v0, v0
	v_cvt_i32_f32_e32 v1, v1
	s_mov_b32 s1, 0x42ce8ed0
	v_cmp_nlt_f32_e32 vcc, s1, v10
	s_mov_b32 s5, 0xc2b17218
	v_ldexp_f32 v0, v0, v1
	s_waitcnt vmcnt(2)
	v_mul_f32_e32 v1, 0xbfb8aa3b, v11
	v_rndne_f32_e32 v2, v1
	v_sub_f32_e32 v3, v1, v2
	v_fma_f32 v1, v11, s0, -v1
	v_fmac_f32_e32 v1, 0xb2a5705f, v11
	v_add_f32_e32 v1, v3, v1
	v_exp_f32_e32 v1, v1
	v_cvt_i32_f32_e32 v2, v2
	v_cndmask_b32_e32 v0, 0, v0, vcc
	v_cmp_ngt_f32_e32 vcc, s5, v10
	v_mov_b32_e32 v3, 0x7f800000
	v_ldexp_f32 v1, v1, v2
	s_waitcnt vmcnt(1)
	v_mul_f32_e32 v2, 0xbfb8aa3b, v12
	v_rndne_f32_e32 v4, v2
	v_sub_f32_e32 v9, v2, v4
	v_fma_f32 v2, v12, s0, -v2
	v_fmac_f32_e32 v2, 0xb2a5705f, v12
	v_add_f32_e32 v2, v9, v2
	v_exp_f32_e32 v2, v2
	v_cvt_i32_f32_e32 v4, v4
	v_cndmask_b32_e32 v0, v3, v0, vcc
	v_cmp_nlt_f32_e32 vcc, s1, v11
	v_ldexp_f32 v2, v2, v4
	s_waitcnt vmcnt(0)
	v_mul_f32_e32 v4, 0xbfb8aa3b, v5
	v_rndne_f32_e32 v9, v4
	v_sub_f32_e32 v10, v4, v9
	v_fma_f32 v4, v5, s0, -v4
	v_fmac_f32_e32 v4, 0xb2a5705f, v5
	v_add_f32_e32 v4, v10, v4
	v_exp_f32_e32 v4, v4
	v_cvt_i32_f32_e32 v9, v9
	v_cndmask_b32_e32 v1, 0, v1, vcc
	v_cmp_ngt_f32_e32 vcc, s5, v11
	v_ldexp_f32 v4, v4, v9
	s_nop 0
	v_cndmask_b32_e32 v1, v3, v1, vcc
	v_cmp_nlt_f32_e32 vcc, s1, v12
	v_pk_add_f32 v[0:1], v[0:1], 1.0 op_sel_hi:[1,0]
	s_nop 0
	v_cndmask_b32_e32 v2, 0, v2, vcc
	v_cmp_ngt_f32_e32 vcc, s5, v12
	s_nop 1
	v_cndmask_b32_e32 v2, v3, v2, vcc
	v_cmp_nlt_f32_e32 vcc, s1, v5
	v_div_scale_f32 v9, s[0:1], v0, v0, 1.0
	v_rcp_f32_e32 v10, v9
	v_cndmask_b32_e32 v4, 0, v4, vcc
	v_cmp_ngt_f32_e32 vcc, s5, v5
	s_nop 1
	v_cndmask_b32_e32 v3, v3, v4, vcc
	v_fma_f32 v4, -v9, v10, 1.0
	v_fmac_f32_e32 v10, v4, v10
	v_div_scale_f32 v4, vcc, 1.0, v0, 1.0
	v_mul_f32_e32 v5, v4, v10
	v_fma_f32 v11, -v9, v5, v4
	v_fmac_f32_e32 v5, v11, v10
	v_fma_f32 v4, -v9, v5, v4
	v_div_scale_f32 v9, s[0:1], v1, v1, 1.0
	v_rcp_f32_e32 v11, v9
	v_div_fmas_f32 v4, v4, v10, v5
	v_div_fixup_f32 v0, v4, v0, 1.0
	v_pk_add_f32 v[2:3], v[2:3], 1.0 op_sel_hi:[1,0]
	v_fma_f32 v4, -v9, v11, 1.0
	v_fmac_f32_e32 v11, v4, v11
	v_div_scale_f32 v4, vcc, 1.0, v1, 1.0
	v_mul_f32_e32 v5, v4, v11
	v_fma_f32 v10, -v9, v5, v4
	v_fmac_f32_e32 v5, v10, v11
	v_fma_f32 v4, -v9, v5, v4
	v_div_scale_f32 v9, s[0:1], v2, v2, 1.0
	v_rcp_f32_e32 v10, v9
	v_div_fmas_f32 v4, v4, v11, v5
	v_div_fixup_f32 v1, v4, v1, 1.0
	v_fma_f32 v4, -v9, v10, 1.0
	v_fmac_f32_e32 v10, v4, v10
	v_div_scale_f32 v4, vcc, 1.0, v2, 1.0
	v_mul_f32_e32 v5, v4, v10
	v_fma_f32 v11, -v9, v5, v4
	v_fmac_f32_e32 v5, v11, v10
	v_fma_f32 v4, -v9, v5, v4
	v_div_scale_f32 v9, s[0:1], v3, v3, 1.0
	v_rcp_f32_e32 v11, v9
	v_div_fmas_f32 v4, v4, v10, v5
	v_div_fixup_f32 v2, v4, v2, 1.0
	v_fma_f32 v4, -v9, v11, 1.0
	v_fmac_f32_e32 v11, v4, v11
	v_div_scale_f32 v4, vcc, 1.0, v3, 1.0
	v_mul_f32_e32 v5, v4, v11
	v_fma_f32 v10, -v9, v5, v4
	v_fmac_f32_e32 v5, v10, v11
	v_fma_f32 v4, -v9, v5, v4
	v_div_fmas_f32 v4, v4, v11, v5
	v_div_fixup_f32 v3, v4, v3, 1.0
.LBB7_6:
	s_waitcnt vmcnt(3)
	v_mov_b32_e32 v10, v0
	s_waitcnt vmcnt(2)
	v_mov_b32_e32 v11, v1
	;; [unrolled: 2-line block ×4, first 2 shown]
.LBB7_7:
	s_lshr_b32 s6, s4, 8
	s_cmp_gt_i32 s17, 0
	s_cbranch_scc1 .LBB7_9
; %bb.8:
	s_bitcmp1_b32 s6, 0
	s_mov_b64 s[0:1], 0
	s_cselect_b64 s[4:5], -1, 0
	s_branch .LBB7_10
.LBB7_9:
	s_mov_b64 s[0:1], -1
                                        ; implicit-def: $sgpr4_sgpr5
.LBB7_10:
	v_add_u32_e32 v22, 32, v19
	v_add_u32_e32 v21, 64, v19
	;; [unrolled: 1-line block ×3, first 2 shown]
	s_mov_b32 s16, 0
	s_andn2_b64 vcc, exec, s[0:1]
	v_mbcnt_lo_u32_b32 v9, -1, 0
	s_cbranch_vccnz .LBB7_37
; %bb.11:
	global_load_dword v16, v8, s[14:15]
	global_load_dword v14, v8, s[14:15] offset:256
	global_load_dword v15, v8, s[14:15] offset:384
	;; [unrolled: 1-line block ×3, first 2 shown]
	v_mov_b32_e32 v3, 0xff7fffff
	s_waitcnt vmcnt(7)
	v_cmp_o_f32_e32 vcc, v10, v10
	v_mbcnt_hi_u32_b32 v26, -1, v9
	v_mov_b32_e32 v24, s12
	v_cndmask_b32_e32 v10, v3, v10, vcc
	s_waitcnt vmcnt(6)
	v_cmp_o_f32_e32 vcc, v11, v11
	v_mov_b32_e32 v25, s13
	v_lshl_add_u64 v[6:7], v[6:7], 2, v[24:25]
	v_cndmask_b32_e32 v11, v3, v11, vcc
	s_waitcnt vmcnt(5)
	v_cmp_o_f32_e32 vcc, v12, v12
	v_xor_b32_e32 v24, 8, v26
	v_xor_b32_e32 v25, 4, v26
	v_cndmask_b32_e32 v12, v3, v12, vcc
	s_waitcnt vmcnt(4)
	v_cmp_o_f32_e32 vcc, v5, v5
	v_xor_b32_e32 v27, 2, v26
	v_xor_b32_e32 v28, 1, v26
	v_cndmask_b32_e32 v13, v3, v5, vcc
	v_and_b32_e32 v3, 0x60, v26
	v_xor_b32_e32 v5, 16, v26
	v_add_u32_e32 v3, 32, v3
	v_cmp_lt_i32_e32 vcc, v5, v3
	s_bitcmp1_b32 s6, 0
	v_mov_b32_e32 v4, 0
	v_cndmask_b32_e32 v5, v26, v5, vcc
	v_cmp_lt_i32_e32 vcc, v24, v3
	v_mov_b32_e32 v23, 0xff800000
	v_mov_b32_e32 v0, 0
	v_cndmask_b32_e32 v24, v26, v24, vcc
	v_cmp_lt_i32_e32 vcc, v25, v3
	v_mov_b32_e32 v1, 0
	v_mov_b32_e32 v2, 0
	v_cndmask_b32_e32 v25, v26, v25, vcc
	v_cmp_lt_i32_e32 vcc, v27, v3
	s_cselect_b64 s[4:5], -1, 0
	v_lshlrev_b32_e32 v5, 2, v5
	v_cndmask_b32_e32 v27, v26, v27, vcc
	v_cmp_lt_i32_e32 vcc, v28, v3
	v_lshlrev_b32_e32 v24, 2, v24
	v_lshlrev_b32_e32 v25, 2, v25
	v_cndmask_b32_e32 v3, v26, v28, vcc
	v_lshlrev_b32_e32 v26, 2, v27
	v_lshlrev_b32_e32 v27, 2, v3
	v_mov_b32_e32 v3, 0
	s_waitcnt vmcnt(1)
	v_pk_add_f32 v[14:15], v[12:13], v[14:15]
	s_waitcnt vmcnt(0)
	v_pk_add_f32 v[16:17], v[10:11], v[16:17]
	s_branch .LBB7_13
.LBB7_12:                               ;   in Loop: Header=BB7_13 Depth=1
	s_or_b64 exec, exec, s[0:1]
	s_and_b32 s0, s16, 31
	s_lshr_b32 s1, s16, 5
	s_cmp_eq_u32 s1, 0
	s_cselect_b64 vcc, -1, 0
	s_cmp_eq_u32 s1, 1
	v_cndmask_b32_e32 v29, v0, v28, vcc
	s_cselect_b64 vcc, -1, 0
	s_cmp_eq_u32 s1, 2
	v_cndmask_b32_e32 v30, v1, v28, vcc
	s_cselect_b64 vcc, -1, 0
	s_cmp_eq_u32 s1, 3
	s_waitcnt lgkmcnt(0)
	v_cndmask_b32_e32 v31, v2, v28, vcc
	s_cselect_b64 vcc, -1, 0
	v_cndmask_b32_e32 v28, v3, v28, vcc
	v_cmp_eq_u32_e32 vcc, s0, v19
	s_add_i32 s16, s16, 1
	s_cmp_eq_u32 s17, s16
	v_cndmask_b32_e32 v3, v3, v28, vcc
	v_cndmask_b32_e32 v2, v2, v31, vcc
	v_cndmask_b32_e32 v1, v1, v30, vcc
	v_cndmask_b32_e32 v0, v0, v29, vcc
	v_lshl_add_u64 v[6:7], v[6:7], 0, 4
	s_cbranch_scc1 .LBB7_38
.LBB7_13:                               ; =>This Inner Loop Header: Depth=1
	v_cmp_gt_f32_e32 vcc, v17, v16
	s_nop 1
	v_cndmask_b32_e32 v30, v16, v17, vcc
	v_cndmask_b32_e32 v28, v10, v11, vcc
	v_cndmask_b32_e32 v29, v19, v22, vcc
	v_cmp_gt_f32_e32 vcc, v14, v30
	s_nop 1
	v_cndmask_b32_e32 v30, v30, v14, vcc
	v_cndmask_b32_e32 v28, v28, v12, vcc
	v_cndmask_b32_e32 v29, v29, v21, vcc
	;; [unrolled: 5-line block ×3, first 2 shown]
	ds_bpermute_b32 v33, v5, v30
	ds_bpermute_b32 v32, v5, v28
	;; [unrolled: 1-line block ×3, first 2 shown]
	s_waitcnt lgkmcnt(2)
	v_cmp_lt_f32_e64 s[6:7], v30, v33
	v_cmp_nlt_f32_e32 vcc, v30, v33
	s_and_saveexec_b64 s[8:9], vcc
	s_cbranch_execz .LBB7_15
; %bb.14:                               ;   in Loop: Header=BB7_13 Depth=1
	v_cmp_eq_f32_e32 vcc, v30, v33
	s_waitcnt lgkmcnt(0)
	v_cmp_lt_i32_e64 s[0:1], v31, v29
	s_and_b64 s[0:1], vcc, s[0:1]
	s_andn2_b64 s[6:7], s[6:7], exec
	s_and_b64 s[0:1], s[0:1], exec
	s_or_b64 s[6:7], s[6:7], s[0:1]
.LBB7_15:                               ;   in Loop: Header=BB7_13 Depth=1
	s_or_b64 exec, exec, s[8:9]
	s_and_saveexec_b64 s[0:1], s[6:7]
	s_cbranch_execz .LBB7_17
; %bb.16:                               ;   in Loop: Header=BB7_13 Depth=1
	v_mov_b32_e32 v30, v33
	s_waitcnt lgkmcnt(1)
	v_mov_b32_e32 v28, v32
	s_waitcnt lgkmcnt(0)
	v_mov_b32_e32 v29, v31
.LBB7_17:                               ;   in Loop: Header=BB7_13 Depth=1
	s_or_b64 exec, exec, s[0:1]
	ds_bpermute_b32 v33, v24, v30
	s_waitcnt lgkmcnt(2)
	ds_bpermute_b32 v32, v24, v28
	s_waitcnt lgkmcnt(2)
	ds_bpermute_b32 v31, v24, v29
	s_waitcnt lgkmcnt(2)
	v_cmp_lt_f32_e64 s[6:7], v30, v33
	v_cmp_nlt_f32_e32 vcc, v30, v33
	s_and_saveexec_b64 s[8:9], vcc
	s_cbranch_execz .LBB7_19
; %bb.18:                               ;   in Loop: Header=BB7_13 Depth=1
	v_cmp_eq_f32_e32 vcc, v30, v33
	s_waitcnt lgkmcnt(0)
	v_cmp_lt_i32_e64 s[0:1], v31, v29
	s_and_b64 s[0:1], vcc, s[0:1]
	s_andn2_b64 s[6:7], s[6:7], exec
	s_and_b64 s[0:1], s[0:1], exec
	s_or_b64 s[6:7], s[6:7], s[0:1]
.LBB7_19:                               ;   in Loop: Header=BB7_13 Depth=1
	s_or_b64 exec, exec, s[8:9]
	s_and_saveexec_b64 s[0:1], s[6:7]
	s_cbranch_execz .LBB7_21
; %bb.20:                               ;   in Loop: Header=BB7_13 Depth=1
	v_mov_b32_e32 v30, v33
	s_waitcnt lgkmcnt(1)
	v_mov_b32_e32 v28, v32
	s_waitcnt lgkmcnt(0)
	v_mov_b32_e32 v29, v31
.LBB7_21:                               ;   in Loop: Header=BB7_13 Depth=1
	s_or_b64 exec, exec, s[0:1]
	ds_bpermute_b32 v33, v25, v30
	s_waitcnt lgkmcnt(2)
	ds_bpermute_b32 v32, v25, v28
	s_waitcnt lgkmcnt(2)
	ds_bpermute_b32 v31, v25, v29
	;; [unrolled: 30-line block ×4, first 2 shown]
	s_waitcnt lgkmcnt(2)
	v_cmp_lt_f32_e64 s[6:7], v30, v33
	v_cmp_nlt_f32_e32 vcc, v30, v33
	s_and_saveexec_b64 s[8:9], vcc
	s_cbranch_execz .LBB7_31
; %bb.30:                               ;   in Loop: Header=BB7_13 Depth=1
	v_cmp_eq_f32_e32 vcc, v30, v33
	s_waitcnt lgkmcnt(0)
	v_cmp_lt_i32_e64 s[0:1], v31, v29
	s_and_b64 s[0:1], vcc, s[0:1]
	s_andn2_b64 s[6:7], s[6:7], exec
	s_and_b64 s[0:1], s[0:1], exec
	s_or_b64 s[6:7], s[6:7], s[0:1]
.LBB7_31:                               ;   in Loop: Header=BB7_13 Depth=1
	s_or_b64 exec, exec, s[8:9]
	s_and_saveexec_b64 s[0:1], s[6:7]
	s_cbranch_execz .LBB7_33
; %bb.32:                               ;   in Loop: Header=BB7_13 Depth=1
	s_waitcnt lgkmcnt(1)
	v_mov_b32_e32 v28, v32
	s_waitcnt lgkmcnt(0)
	v_mov_b32_e32 v29, v31
.LBB7_33:                               ;   in Loop: Header=BB7_13 Depth=1
	s_or_b64 exec, exec, s[0:1]
	v_and_b32_e32 v30, 31, v29
	v_cmp_eq_u32_e32 vcc, v30, v19
	s_and_saveexec_b64 s[6:7], vcc
	s_cbranch_execz .LBB7_35
; %bb.34:                               ;   in Loop: Header=BB7_13 Depth=1
	v_ashrrev_i32_e32 v30, 31, v29
	v_lshrrev_b32_e32 v30, 27, v30
	v_add_u32_e32 v30, v29, v30
	v_ashrrev_i32_e32 v30, 5, v30
	v_cmp_ne_u32_e64 s[0:1], 3, v30
	s_nop 1
	v_cndmask_b32_e64 v15, v23, v15, s[0:1]
	v_cmp_ne_u32_e64 s[0:1], 2, v30
	s_nop 1
	v_cndmask_b32_e64 v14, v23, v14, s[0:1]
	;; [unrolled: 3-line block ×4, first 2 shown]
.LBB7_35:                               ;   in Loop: Header=BB7_13 Depth=1
	s_or_b64 exec, exec, s[6:7]
	s_and_saveexec_b64 s[0:1], vcc
	s_cbranch_execz .LBB7_12
; %bb.36:                               ;   in Loop: Header=BB7_13 Depth=1
	v_add_f32_e32 v30, v4, v28
	v_cndmask_b32_e64 v4, v4, v30, s[4:5]
	global_store_dword v[6:7], v29, off
	s_branch .LBB7_12
.LBB7_37:
	v_mov_b32_e32 v4, 0
	s_waitcnt vmcnt(0)
	v_mov_b32_e32 v5, v4
	v_mov_b32_e32 v6, v4
	;; [unrolled: 1-line block ×3, first 2 shown]
	v_mov_b64_e32 v[0:1], v[4:5]
	v_mov_b64_e32 v[2:3], v[6:7]
.LBB7_38:
	s_and_b64 vcc, exec, s[4:5]
	s_cbranch_vccz .LBB7_40
; %bb.39:
	v_mbcnt_hi_u32_b32 v5, -1, v9
	v_and_b32_e32 v6, 0x60, v5
	v_add_u32_e32 v6, 32, v6
	v_xor_b32_e32 v7, 16, v5
	v_cmp_lt_i32_e32 vcc, v7, v6
	v_xor_b32_e32 v10, 8, v5
	s_nop 0
	v_cndmask_b32_e32 v7, v5, v7, vcc
	v_lshlrev_b32_e32 v7, 2, v7
	ds_bpermute_b32 v7, v7, v4
	v_cmp_lt_i32_e32 vcc, v10, v6
	s_waitcnt lgkmcnt(0)
	v_add_f32_e32 v4, v4, v7
	v_cndmask_b32_e32 v7, v5, v10, vcc
	v_lshlrev_b32_e32 v7, 2, v7
	ds_bpermute_b32 v7, v7, v4
	v_xor_b32_e32 v10, 4, v5
	v_cmp_lt_i32_e32 vcc, v10, v6
	s_waitcnt lgkmcnt(0)
	v_add_f32_e32 v4, v4, v7
	v_cndmask_b32_e32 v7, v5, v10, vcc
	v_lshlrev_b32_e32 v7, 2, v7
	ds_bpermute_b32 v7, v7, v4
	v_xor_b32_e32 v10, 2, v5
	;; [unrolled: 7-line block ×3, first 2 shown]
	v_cmp_lt_i32_e32 vcc, v10, v6
	v_max_f32_e64 v6, s18, s18
	s_waitcnt lgkmcnt(0)
	v_add_f32_e32 v4, v4, v7
	v_cndmask_b32_e32 v5, v5, v10, vcc
	v_lshlrev_b32_e32 v5, 2, v5
	ds_bpermute_b32 v5, v5, v4
	s_waitcnt lgkmcnt(0)
	v_add_f32_e32 v4, v4, v5
	v_max_f32_e32 v4, v4, v6
	v_div_scale_f32 v5, s[0:1], v4, v4, 1.0
	v_rcp_f32_e32 v6, v5
	v_div_scale_f32 v7, vcc, 1.0, v4, 1.0
	v_fma_f32 v10, -v5, v6, 1.0
	v_fmac_f32_e32 v6, v10, v6
	v_mul_f32_e32 v10, v7, v6
	v_fma_f32 v11, -v5, v10, v7
	v_fmac_f32_e32 v10, v11, v6
	v_fma_f32 v5, -v5, v10, v7
	v_div_fmas_f32 v5, v5, v6, v10
	v_div_fixup_f32 v4, v5, v4, 1.0
	v_pk_mul_f32 v[2:3], v[4:5], v[2:3] op_sel_hi:[0,1]
	v_pk_mul_f32 v[0:1], v[4:5], v[0:1] op_sel_hi:[0,1]
.LBB7_40:
	s_andn2_b64 vcc, exec, s[2:3]
	v_cmp_gt_i32_e64 s[4:5], s17, v22
	v_cmp_gt_i32_e64 s[2:3], s17, v21
	;; [unrolled: 1-line block ×4, first 2 shown]
	s_cbranch_vccnz .LBB7_42
; %bb.41:
	v_max_f32_e32 v4, v0, v0
	v_max_f32_e32 v4, 0xff800000, v4
	v_mov_b32_e32 v5, 0xff800000
	v_cndmask_b32_e64 v4, v5, v4, s[6:7]
	v_max_f32_e32 v5, v1, v1
	v_max_f32_e32 v5, v4, v5
	v_cndmask_b32_e64 v4, v4, v5, s[4:5]
	v_max_f32_e32 v5, v2, v2
	v_max_f32_e32 v5, v4, v5
	;; [unrolled: 3-line block ×3, first 2 shown]
	v_cndmask_b32_e64 v4, v4, v5, s[0:1]
	v_mbcnt_hi_u32_b32 v5, -1, v9
	v_and_b32_e32 v6, 0x60, v5
	v_add_u32_e32 v6, 32, v6
	v_xor_b32_e32 v7, 16, v5
	v_cmp_lt_i32_e32 vcc, v7, v6
	s_mov_b32 s8, 0x3fb8aa3b
	s_mov_b32 s9, 0xc2ce8ed0
	v_cndmask_b32_e32 v7, v5, v7, vcc
	v_lshlrev_b32_e32 v7, 2, v7
	ds_bpermute_b32 v9, v7, v4
	s_mov_b32 s12, 0x42b17218
	s_waitcnt lgkmcnt(0)
	v_max_f32_e32 v9, v9, v9
	v_max_f32_e32 v4, v4, v9
	v_xor_b32_e32 v9, 8, v5
	v_cmp_lt_i32_e32 vcc, v9, v6
	s_nop 1
	v_cndmask_b32_e32 v9, v5, v9, vcc
	v_lshlrev_b32_e32 v9, 2, v9
	ds_bpermute_b32 v10, v9, v4
	s_waitcnt lgkmcnt(0)
	v_max_f32_e32 v10, v10, v10
	v_max_f32_e32 v4, v4, v10
	v_xor_b32_e32 v10, 4, v5
	v_cmp_lt_i32_e32 vcc, v10, v6
	s_nop 1
	v_cndmask_b32_e32 v10, v5, v10, vcc
	v_lshlrev_b32_e32 v10, 2, v10
	ds_bpermute_b32 v11, v10, v4
	;; [unrolled: 9-line block ×4, first 2 shown]
	s_waitcnt lgkmcnt(0)
	v_max_f32_e32 v6, v6, v6
	v_max_f32_e32 v4, v4, v6
	v_sub_f32_e32 v0, v0, v4
	v_mul_f32_e32 v6, 0x3fb8aa3b, v0
	v_fma_f32 v12, v0, s8, -v6
	v_rndne_f32_e32 v13, v6
	v_fmac_f32_e32 v12, 0x32a5705f, v0
	v_sub_f32_e32 v6, v6, v13
	v_sub_f32_e32 v1, v1, v4
	v_add_f32_e32 v6, v6, v12
	v_cvt_i32_f32_e32 v12, v13
	v_mul_f32_e32 v13, 0x3fb8aa3b, v1
	v_fma_f32 v14, v1, s8, -v13
	v_rndne_f32_e32 v15, v13
	v_exp_f32_e32 v6, v6
	v_fmac_f32_e32 v14, 0x32a5705f, v1
	v_sub_f32_e32 v13, v13, v15
	v_add_f32_e32 v13, v13, v14
	v_exp_f32_e32 v13, v13
	v_cvt_i32_f32_e32 v14, v15
	v_ldexp_f32 v6, v6, v12
	v_cmp_ngt_f32_e32 vcc, s9, v0
	v_mov_b32_e32 v12, 0x7f800000
	v_sub_f32_e32 v2, v2, v4
	v_cndmask_b32_e32 v6, 0, v6, vcc
	v_cmp_nlt_f32_e32 vcc, s12, v0
	v_sub_f32_e32 v3, v3, v4
	v_mul_f32_e32 v4, 0x3fb8aa3b, v3
	v_cndmask_b32_e32 v0, v12, v6, vcc
	v_ldexp_f32 v6, v13, v14
	v_mul_f32_e32 v13, 0x3fb8aa3b, v2
	v_fma_f32 v14, v2, s8, -v13
	v_rndne_f32_e32 v15, v13
	v_fmac_f32_e32 v14, 0x32a5705f, v2
	v_sub_f32_e32 v13, v13, v15
	v_add_f32_e32 v13, v13, v14
	v_exp_f32_e32 v13, v13
	v_cvt_i32_f32_e32 v14, v15
	v_rndne_f32_e32 v15, v4
	v_cmp_ngt_f32_e32 vcc, s9, v1
	v_cndmask_b32_e64 v0, 0, v0, s[6:7]
	v_ldexp_f32 v13, v13, v14
	v_fma_f32 v14, v3, s8, -v4
	v_fmac_f32_e32 v14, 0x32a5705f, v3
	v_sub_f32_e32 v4, v4, v15
	v_cndmask_b32_e32 v6, 0, v6, vcc
	v_cmp_nlt_f32_e32 vcc, s12, v1
	v_add_f32_e32 v4, v4, v14
	v_exp_f32_e32 v4, v4
	v_cndmask_b32_e32 v6, v12, v6, vcc
	v_cmp_ngt_f32_e32 vcc, s9, v2
	v_cvt_i32_f32_e32 v14, v15
	v_add_f32_e32 v1, v6, v0
	v_cndmask_b32_e32 v13, 0, v13, vcc
	v_cmp_nlt_f32_e32 vcc, s12, v2
	v_cndmask_b32_e64 v1, v0, v1, s[4:5]
	s_nop 0
	v_cndmask_b32_e32 v13, v12, v13, vcc
	v_add_f32_e32 v2, v1, v13
	v_cndmask_b32_e64 v1, v1, v2, s[2:3]
	v_ldexp_f32 v2, v4, v14
	v_cmp_ngt_f32_e32 vcc, s9, v3
	s_nop 1
	v_cndmask_b32_e32 v2, 0, v2, vcc
	v_cmp_nlt_f32_e32 vcc, s12, v3
	s_mov_b32 s12, 0
	s_nop 0
	v_cndmask_b32_e32 v4, v12, v2, vcc
	v_add_f32_e32 v2, v1, v4
	v_cndmask_b32_e64 v1, v1, v2, s[0:1]
	ds_bpermute_b32 v2, v7, v1
	v_cndmask_b32_e64 v7, 0, v13, s[2:3]
	s_waitcnt lgkmcnt(0)
	v_add_f32_e32 v1, v1, v2
	ds_bpermute_b32 v2, v9, v1
	s_waitcnt lgkmcnt(0)
	v_add_f32_e32 v1, v1, v2
	ds_bpermute_b32 v2, v10, v1
	;; [unrolled: 3-line block ×3, first 2 shown]
	v_mov_b32_e32 v1, s12
	v_cndmask_b32_e64 v1, v1, v6, s[4:5]
	v_cndmask_b32_e64 v6, 0, v6, s[4:5]
	s_waitcnt lgkmcnt(0)
	v_add_f32_e32 v3, v2, v3
	ds_bpermute_b32 v5, v5, v3
	v_mov_b32_e32 v2, s12
	v_cndmask_b32_e64 v2, v2, v13, s[2:3]
	s_waitcnt lgkmcnt(0)
	v_add_f32_e32 v5, v3, v5
	v_div_scale_f32 v9, s[8:9], v5, v5, 1.0
	v_rcp_f32_e32 v10, v9
	v_mov_b32_e32 v3, s12
	v_cndmask_b32_e64 v3, v3, v4, s[0:1]
	v_cndmask_b32_e64 v4, 0, v4, s[0:1]
	v_fma_f32 v11, -v9, v10, 1.0
	v_fmac_f32_e32 v10, v11, v10
	v_div_scale_f32 v11, vcc, 1.0, v5, 1.0
	v_mul_f32_e32 v12, v11, v10
	v_fma_f32 v13, -v9, v12, v11
	v_fmac_f32_e32 v12, v13, v10
	v_fma_f32 v9, -v9, v12, v11
	v_div_fmas_f32 v9, v9, v10, v12
	v_div_fixup_f32 v5, v9, v5, 1.0
	v_mul_f32_e32 v6, v6, v5
	v_mul_f32_e32 v9, v0, v5
	v_cndmask_b32_e64 v1, v1, v6, s[4:5]
	v_mul_f32_e32 v6, v7, v5
	v_mul_f32_e32 v4, v4, v5
	v_cndmask_b32_e64 v0, v0, v9, s[6:7]
	v_cndmask_b32_e64 v2, v2, v6, s[2:3]
	v_cndmask_b32_e64 v3, v3, v4, s[0:1]
.LBB7_42:
	v_mul_lo_u32 v6, v18, s17
	v_mov_b32_e32 v4, s10
	v_mov_b32_e32 v5, s11
	v_ashrrev_i32_e32 v7, 31, v6
	v_lshl_add_u64 v[4:5], v[6:7], 2, v[4:5]
	v_cmp_gt_i32_e32 vcc, s17, v19
	s_and_saveexec_b64 s[0:1], vcc
	s_cbranch_execnz .LBB7_48
; %bb.43:
	s_or_b64 exec, exec, s[0:1]
	v_cmp_gt_i32_e32 vcc, s17, v22
	s_and_saveexec_b64 s[0:1], vcc
	s_cbranch_execnz .LBB7_49
.LBB7_44:
	s_or_b64 exec, exec, s[0:1]
	v_cmp_gt_i32_e32 vcc, s17, v21
	s_and_saveexec_b64 s[0:1], vcc
	s_cbranch_execnz .LBB7_50
.LBB7_45:
	s_or_b64 exec, exec, s[0:1]
	v_cmp_gt_i32_e32 vcc, s17, v20
	s_and_b64 exec, exec, vcc
	s_cbranch_execz .LBB7_47
.LBB7_46:
	v_mov_b32_e32 v9, 0
	v_lshl_add_u64 v[0:1], v[4:5], 0, v[8:9]
	v_mul_f32_e32 v2, s19, v3
	global_store_dword v[0:1], v2, off offset:384
.LBB7_47:
	s_endpgm
.LBB7_48:
	v_mov_b32_e32 v9, 0
	v_lshl_add_u64 v[6:7], v[4:5], 0, v[8:9]
	v_mul_f32_e32 v0, s19, v0
	global_store_dword v[6:7], v0, off
	s_or_b64 exec, exec, s[0:1]
	v_cmp_gt_i32_e32 vcc, s17, v22
	s_and_saveexec_b64 s[0:1], vcc
	s_cbranch_execz .LBB7_44
.LBB7_49:
	v_mov_b32_e32 v9, 0
	v_lshl_add_u64 v[6:7], v[4:5], 0, v[8:9]
	v_mul_f32_e32 v0, s19, v1
	global_store_dword v[6:7], v0, off offset:128
	s_or_b64 exec, exec, s[0:1]
	v_cmp_gt_i32_e32 vcc, s17, v21
	s_and_saveexec_b64 s[0:1], vcc
	s_cbranch_execz .LBB7_45
.LBB7_50:
	v_mov_b32_e32 v9, 0
	v_lshl_add_u64 v[0:1], v[4:5], 0, v[8:9]
	v_mul_f32_e32 v2, s19, v2
	global_store_dword v[0:1], v2, off offset:256
	s_or_b64 exec, exec, s[0:1]
	v_cmp_gt_i32_e32 vcc, s17, v20
	s_and_b64 exec, exec, vcc
	s_cbranch_execnz .LBB7_46
	s_branch .LBB7_47
	.section	.rodata,"a",@progbits
	.p2align	6, 0x0
	.amdhsa_kernel _Z13topk_moe_cudaILi128ELb1EEvPKfPfPiS2_iiff15topk_moe_config
		.amdhsa_group_segment_fixed_size 0
		.amdhsa_private_segment_fixed_size 0
		.amdhsa_kernarg_size 312
		.amdhsa_user_sgpr_count 2
		.amdhsa_user_sgpr_dispatch_ptr 0
		.amdhsa_user_sgpr_queue_ptr 0
		.amdhsa_user_sgpr_kernarg_segment_ptr 1
		.amdhsa_user_sgpr_dispatch_id 0
		.amdhsa_user_sgpr_kernarg_preload_length 0
		.amdhsa_user_sgpr_kernarg_preload_offset 0
		.amdhsa_user_sgpr_private_segment_size 0
		.amdhsa_uses_dynamic_stack 0
		.amdhsa_enable_private_segment 0
		.amdhsa_system_sgpr_workgroup_id_x 1
		.amdhsa_system_sgpr_workgroup_id_y 0
		.amdhsa_system_sgpr_workgroup_id_z 0
		.amdhsa_system_sgpr_workgroup_info 0
		.amdhsa_system_vgpr_workitem_id 1
		.amdhsa_next_free_vgpr 34
		.amdhsa_next_free_sgpr 20
		.amdhsa_accum_offset 36
		.amdhsa_reserve_vcc 1
		.amdhsa_float_round_mode_32 0
		.amdhsa_float_round_mode_16_64 0
		.amdhsa_float_denorm_mode_32 3
		.amdhsa_float_denorm_mode_16_64 3
		.amdhsa_dx10_clamp 1
		.amdhsa_ieee_mode 1
		.amdhsa_fp16_overflow 0
		.amdhsa_tg_split 0
		.amdhsa_exception_fp_ieee_invalid_op 0
		.amdhsa_exception_fp_denorm_src 0
		.amdhsa_exception_fp_ieee_div_zero 0
		.amdhsa_exception_fp_ieee_overflow 0
		.amdhsa_exception_fp_ieee_underflow 0
		.amdhsa_exception_fp_ieee_inexact 0
		.amdhsa_exception_int_div_zero 0
	.end_amdhsa_kernel
	.section	.text._Z13topk_moe_cudaILi128ELb1EEvPKfPfPiS2_iiff15topk_moe_config,"axG",@progbits,_Z13topk_moe_cudaILi128ELb1EEvPKfPfPiS2_iiff15topk_moe_config,comdat
.Lfunc_end7:
	.size	_Z13topk_moe_cudaILi128ELb1EEvPKfPfPiS2_iiff15topk_moe_config, .Lfunc_end7-_Z13topk_moe_cudaILi128ELb1EEvPKfPfPiS2_iiff15topk_moe_config
                                        ; -- End function
	.set _Z13topk_moe_cudaILi128ELb1EEvPKfPfPiS2_iiff15topk_moe_config.num_vgpr, 34
	.set _Z13topk_moe_cudaILi128ELb1EEvPKfPfPiS2_iiff15topk_moe_config.num_agpr, 0
	.set _Z13topk_moe_cudaILi128ELb1EEvPKfPfPiS2_iiff15topk_moe_config.numbered_sgpr, 20
	.set _Z13topk_moe_cudaILi128ELb1EEvPKfPfPiS2_iiff15topk_moe_config.num_named_barrier, 0
	.set _Z13topk_moe_cudaILi128ELb1EEvPKfPfPiS2_iiff15topk_moe_config.private_seg_size, 0
	.set _Z13topk_moe_cudaILi128ELb1EEvPKfPfPiS2_iiff15topk_moe_config.uses_vcc, 1
	.set _Z13topk_moe_cudaILi128ELb1EEvPKfPfPiS2_iiff15topk_moe_config.uses_flat_scratch, 0
	.set _Z13topk_moe_cudaILi128ELb1EEvPKfPfPiS2_iiff15topk_moe_config.has_dyn_sized_stack, 0
	.set _Z13topk_moe_cudaILi128ELb1EEvPKfPfPiS2_iiff15topk_moe_config.has_recursion, 0
	.set _Z13topk_moe_cudaILi128ELb1EEvPKfPfPiS2_iiff15topk_moe_config.has_indirect_call, 0
	.section	.AMDGPU.csdata,"",@progbits
; Kernel info:
; codeLenInByte = 4456
; TotalNumSgprs: 26
; NumVgprs: 34
; NumAgprs: 0
; TotalNumVgprs: 34
; ScratchSize: 0
; MemoryBound: 0
; FloatMode: 240
; IeeeMode: 1
; LDSByteSize: 0 bytes/workgroup (compile time only)
; SGPRBlocks: 3
; VGPRBlocks: 4
; NumSGPRsForWavesPerEU: 26
; NumVGPRsForWavesPerEU: 34
; AccumOffset: 36
; Occupancy: 8
; WaveLimiterHint : 1
; COMPUTE_PGM_RSRC2:SCRATCH_EN: 0
; COMPUTE_PGM_RSRC2:USER_SGPR: 2
; COMPUTE_PGM_RSRC2:TRAP_HANDLER: 0
; COMPUTE_PGM_RSRC2:TGID_X_EN: 1
; COMPUTE_PGM_RSRC2:TGID_Y_EN: 0
; COMPUTE_PGM_RSRC2:TGID_Z_EN: 0
; COMPUTE_PGM_RSRC2:TIDIG_COMP_CNT: 1
; COMPUTE_PGM_RSRC3_GFX90A:ACCUM_OFFSET: 8
; COMPUTE_PGM_RSRC3_GFX90A:TG_SPLIT: 0
	.section	.text._Z13topk_moe_cudaILi256ELb1EEvPKfPfPiS2_iiff15topk_moe_config,"axG",@progbits,_Z13topk_moe_cudaILi256ELb1EEvPKfPfPiS2_iiff15topk_moe_config,comdat
	.protected	_Z13topk_moe_cudaILi256ELb1EEvPKfPfPiS2_iiff15topk_moe_config ; -- Begin function _Z13topk_moe_cudaILi256ELb1EEvPKfPfPiS2_iiff15topk_moe_config
	.globl	_Z13topk_moe_cudaILi256ELb1EEvPKfPfPiS2_iiff15topk_moe_config
	.p2align	8
	.type	_Z13topk_moe_cudaILi256ELb1EEvPKfPfPiS2_iiff15topk_moe_config,@function
_Z13topk_moe_cudaILi256ELb1EEvPKfPfPiS2_iiff15topk_moe_config: ; @_Z13topk_moe_cudaILi256ELb1EEvPKfPfPiS2_iiff15topk_moe_config
; %bb.0:
	s_load_dword s3, s[0:1], 0x44
	s_load_dwordx4 s[24:27], s[0:1], 0x20
	v_bfe_u32 v1, v0, 10, 10
	s_waitcnt lgkmcnt(0)
	s_lshr_b32 s3, s3, 16
	s_mul_i32 s2, s2, s3
	v_add_u32_e32 v30, s2, v1
	v_cmp_gt_i32_e32 vcc, s24, v30
	s_and_saveexec_b64 s[2:3], vcc
	s_cbranch_execz .LBB8_51
; %bb.1:
	s_load_dwordx8 s[16:23], s[0:1], 0x0
	v_lshlrev_b32_e32 v10, 8, v30
	v_ashrrev_i32_e32 v11, 31, v10
	v_and_b32_e32 v31, 0x3ff, v0
	v_mov_b32_e32 v17, 0
	s_waitcnt lgkmcnt(0)
	v_mov_b32_e32 v2, s16
	v_mov_b32_e32 v3, s17
	v_lshl_add_u64 v[2:3], v[10:11], 2, v[2:3]
	v_lshlrev_b32_e32 v16, 2, v31
	v_lshl_add_u64 v[2:3], v[2:3], 0, v[16:17]
	global_load_dword v12, v[2:3], off
	global_load_dword v13, v[2:3], off offset:128
	global_load_dword v14, v[2:3], off offset:256
	;; [unrolled: 1-line block ×7, first 2 shown]
	global_load_ushort v1, v17, s[0:1] offset:48
	s_load_dword s0, s[0:1], 0x30
	s_waitcnt vmcnt(0)
	v_readfirstlane_b32 s1, v1
	s_and_b32 s4, 0xffff, s1
	s_waitcnt lgkmcnt(0)
	s_bitcmp1_b32 s0, 16
	s_cselect_b64 s[2:3], -1, 0
	s_and_b64 vcc, exec, s[2:3]
	s_cbranch_vccnz .LBB8_7
; %bb.2:
	v_and_b32_e32 v0, 1, v1
	v_cmp_eq_u32_e32 vcc, 0, v0
	s_cbranch_vccz .LBB8_4
; %bb.3:
	v_mbcnt_lo_u32_b32 v1, -1, 0
	v_mbcnt_hi_u32_b32 v1, -1, v1
	s_mov_b32 s0, 0xff800000
	v_and_b32_e32 v2, 0x60, v1
	v_max3_f32 v0, v12, s0, v13
	v_add_u32_e32 v2, 32, v2
	v_xor_b32_e32 v3, 16, v1
	v_max3_f32 v0, v0, v14, v15
	v_cmp_lt_i32_e32 vcc, v3, v2
	v_max3_f32 v0, v0, v18, v19
	v_max3_f32 v0, v0, v20, v9
	v_cndmask_b32_e32 v3, v1, v3, vcc
	v_lshlrev_b32_e32 v8, 2, v3
	ds_bpermute_b32 v3, v8, v0
	s_mov_b32 s0, 0x3fb8aa3b
	s_mov_b32 s1, 0xc2ce8ed0
	;; [unrolled: 1-line block ×3, first 2 shown]
	v_mov_b32_e32 v7, 0x7f800000
	s_waitcnt lgkmcnt(0)
	v_max_f32_e32 v3, v3, v3
	v_max_f32_e32 v0, v0, v3
	v_xor_b32_e32 v3, 8, v1
	v_cmp_lt_i32_e32 vcc, v3, v2
	s_nop 1
	v_cndmask_b32_e32 v3, v1, v3, vcc
	v_lshlrev_b32_e32 v17, 2, v3
	ds_bpermute_b32 v3, v17, v0
	s_waitcnt lgkmcnt(0)
	v_max_f32_e32 v3, v3, v3
	v_max_f32_e32 v0, v0, v3
	v_xor_b32_e32 v3, 4, v1
	v_cmp_lt_i32_e32 vcc, v3, v2
	s_nop 1
	v_cndmask_b32_e32 v3, v1, v3, vcc
	v_lshlrev_b32_e32 v21, 2, v3
	ds_bpermute_b32 v3, v21, v0
	;; [unrolled: 9-line block ×4, first 2 shown]
	s_waitcnt lgkmcnt(0)
	v_max_f32_e32 v1, v1, v1
	v_max_f32_e32 v6, v0, v1
	v_sub_f32_e32 v0, v12, v6
	v_mul_f32_e32 v1, 0x3fb8aa3b, v0
	v_fma_f32 v2, v0, s0, -v1
	v_rndne_f32_e32 v3, v1
	v_fmac_f32_e32 v2, 0x32a5705f, v0
	v_sub_f32_e32 v1, v1, v3
	v_add_f32_e32 v1, v1, v2
	v_exp_f32_e32 v1, v1
	v_cvt_i32_f32_e32 v2, v3
	v_cmp_ngt_f32_e32 vcc, s1, v0
	v_ldexp_f32 v1, v1, v2
	v_sub_f32_e32 v2, v13, v6
	v_mul_f32_e32 v3, 0x3fb8aa3b, v2
	v_fma_f32 v4, v2, s0, -v3
	v_rndne_f32_e32 v5, v3
	v_fmac_f32_e32 v4, 0x32a5705f, v2
	v_sub_f32_e32 v3, v3, v5
	v_add_f32_e32 v3, v3, v4
	v_exp_f32_e32 v3, v3
	v_cvt_i32_f32_e32 v4, v5
	v_cndmask_b32_e32 v1, 0, v1, vcc
	v_cmp_nlt_f32_e32 vcc, s5, v0
	s_nop 1
	v_cndmask_b32_e32 v0, v7, v1, vcc
	v_ldexp_f32 v1, v3, v4
	v_sub_f32_e32 v3, v14, v6
	v_mul_f32_e32 v4, 0x3fb8aa3b, v3
	v_fma_f32 v5, v3, s0, -v4
	v_rndne_f32_e32 v24, v4
	v_fmac_f32_e32 v5, 0x32a5705f, v3
	v_sub_f32_e32 v4, v4, v24
	v_add_f32_e32 v4, v4, v5
	v_exp_f32_e32 v4, v4
	v_cvt_i32_f32_e32 v5, v24
	v_cmp_ngt_f32_e32 vcc, s1, v2
	s_nop 1
	v_cndmask_b32_e32 v1, 0, v1, vcc
	v_cmp_nlt_f32_e32 vcc, s5, v2
	v_ldexp_f32 v2, v4, v5
	v_sub_f32_e32 v4, v15, v6
	v_mul_f32_e32 v5, 0x3fb8aa3b, v4
	v_fma_f32 v25, v4, s0, -v5
	v_rndne_f32_e32 v26, v5
	v_fmac_f32_e32 v25, 0x32a5705f, v4
	v_sub_f32_e32 v5, v5, v26
	v_add_f32_e32 v5, v5, v25
	v_exp_f32_e32 v5, v5
	v_cvt_i32_f32_e32 v25, v26
	v_cndmask_b32_e32 v1, v7, v1, vcc
	v_cmp_ngt_f32_e32 vcc, s1, v3
	v_add_f32_e32 v24, v0, v1
	s_nop 0
	v_cndmask_b32_e32 v2, 0, v2, vcc
	v_cmp_nlt_f32_e32 vcc, s5, v3
	v_ldexp_f32 v3, v5, v25
	v_sub_f32_e32 v5, v18, v6
	v_mul_f32_e32 v25, 0x3fb8aa3b, v5
	v_fma_f32 v26, v5, s0, -v25
	v_rndne_f32_e32 v27, v25
	v_fmac_f32_e32 v26, 0x32a5705f, v5
	v_sub_f32_e32 v25, v25, v27
	v_add_f32_e32 v25, v25, v26
	v_exp_f32_e32 v25, v25
	v_cvt_i32_f32_e32 v26, v27
	v_cndmask_b32_e32 v2, v7, v2, vcc
	v_cmp_ngt_f32_e32 vcc, s1, v4
	v_add_f32_e32 v24, v2, v24
	;; [unrolled: 16-line block ×5, first 2 shown]
	s_nop 0
	v_cndmask_b32_e32 v25, 0, v25, vcc
	v_cmp_nlt_f32_e32 vcc, s5, v26
	s_nop 1
	v_cndmask_b32_e32 v6, v7, v25, vcc
	v_ldexp_f32 v25, v28, v29
	v_cmp_ngt_f32_e32 vcc, s1, v27
	v_add_f32_e32 v24, v6, v24
	s_nop 0
	v_cndmask_b32_e32 v25, 0, v25, vcc
	v_cmp_nlt_f32_e32 vcc, s5, v27
	s_nop 1
	v_cndmask_b32_e32 v7, v7, v25, vcc
	v_add_f32_e32 v24, v7, v24
	ds_bpermute_b32 v8, v8, v24
	s_waitcnt lgkmcnt(0)
	v_add_f32_e32 v8, v24, v8
	ds_bpermute_b32 v17, v17, v8
	s_waitcnt lgkmcnt(0)
	;; [unrolled: 3-line block ×5, first 2 shown]
	v_add_f32_e32 v8, v8, v17
	v_div_scale_f32 v17, s[0:1], v8, v8, 1.0
	v_rcp_f32_e32 v21, v17
	s_nop 0
	v_fma_f32 v22, -v17, v21, 1.0
	v_fmac_f32_e32 v21, v22, v21
	v_div_scale_f32 v22, vcc, 1.0, v8, 1.0
	v_mul_f32_e32 v23, v22, v21
	v_fma_f32 v24, -v17, v23, v22
	v_fmac_f32_e32 v23, v24, v21
	v_fma_f32 v17, -v17, v23, v22
	v_div_fmas_f32 v17, v17, v21, v23
	v_div_fixup_f32 v8, v17, v8, 1.0
	v_pk_mul_f32 v[6:7], v[6:7], v[8:9] op_sel_hi:[1,0]
	v_pk_mul_f32 v[4:5], v[4:5], v[8:9] op_sel_hi:[1,0]
	;; [unrolled: 1-line block ×4, first 2 shown]
	s_cbranch_execz .LBB8_5
	s_branch .LBB8_6
.LBB8_4:
                                        ; implicit-def: $vgpr7
                                        ; implicit-def: $vgpr5
                                        ; implicit-def: $vgpr3
                                        ; implicit-def: $vgpr1
.LBB8_5:
	v_mul_f32_e32 v0, 0xbfb8aa3b, v12
	s_mov_b32 s0, 0xbfb8aa3b
	v_rndne_f32_e32 v1, v0
	v_sub_f32_e32 v2, v0, v1
	v_fma_f32 v0, v12, s0, -v0
	v_fmac_f32_e32 v0, 0xb2a5705f, v12
	v_add_f32_e32 v0, v2, v0
	v_exp_f32_e32 v0, v0
	v_cvt_i32_f32_e32 v1, v1
	s_mov_b32 s1, 0x42ce8ed0
	v_cmp_nlt_f32_e32 vcc, s1, v12
	s_mov_b32 s5, 0xc2b17218
	v_ldexp_f32 v0, v0, v1
	v_mul_f32_e32 v1, 0xbfb8aa3b, v13
	v_rndne_f32_e32 v2, v1
	v_sub_f32_e32 v3, v1, v2
	v_fma_f32 v1, v13, s0, -v1
	v_fmac_f32_e32 v1, 0xb2a5705f, v13
	v_add_f32_e32 v1, v3, v1
	v_exp_f32_e32 v1, v1
	v_cvt_i32_f32_e32 v2, v2
	v_cndmask_b32_e32 v0, 0, v0, vcc
	v_cmp_ngt_f32_e32 vcc, s5, v12
	v_mov_b32_e32 v7, 0x7f800000
	v_ldexp_f32 v1, v1, v2
	v_mul_f32_e32 v2, 0xbfb8aa3b, v14
	v_rndne_f32_e32 v3, v2
	v_sub_f32_e32 v4, v2, v3
	v_fma_f32 v2, v14, s0, -v2
	v_fmac_f32_e32 v2, 0xb2a5705f, v14
	v_add_f32_e32 v2, v4, v2
	v_exp_f32_e32 v2, v2
	v_cvt_i32_f32_e32 v3, v3
	v_cndmask_b32_e32 v0, v7, v0, vcc
	v_cmp_nlt_f32_e32 vcc, s1, v13
	v_ldexp_f32 v2, v2, v3
	v_mul_f32_e32 v3, 0xbfb8aa3b, v15
	v_rndne_f32_e32 v4, v3
	v_sub_f32_e32 v5, v3, v4
	v_fma_f32 v3, v15, s0, -v3
	v_fmac_f32_e32 v3, 0xb2a5705f, v15
	v_add_f32_e32 v3, v5, v3
	v_exp_f32_e32 v3, v3
	v_cvt_i32_f32_e32 v4, v4
	v_cndmask_b32_e32 v1, 0, v1, vcc
	v_cmp_ngt_f32_e32 vcc, s5, v13
	v_ldexp_f32 v3, v3, v4
	v_mul_f32_e32 v4, 0xbfb8aa3b, v18
	v_rndne_f32_e32 v5, v4
	v_sub_f32_e32 v6, v4, v5
	v_fma_f32 v4, v18, s0, -v4
	v_fmac_f32_e32 v4, 0xb2a5705f, v18
	v_add_f32_e32 v4, v6, v4
	v_exp_f32_e32 v4, v4
	v_cvt_i32_f32_e32 v5, v5
	v_cndmask_b32_e32 v1, v7, v1, vcc
	v_cmp_nlt_f32_e32 vcc, s1, v14
	v_pk_add_f32 v[0:1], v[0:1], 1.0 op_sel_hi:[1,0]
	v_ldexp_f32 v4, v4, v5
	v_mul_f32_e32 v5, 0xbfb8aa3b, v19
	v_rndne_f32_e32 v6, v5
	v_sub_f32_e32 v8, v5, v6
	v_fma_f32 v5, v19, s0, -v5
	v_fmac_f32_e32 v5, 0xb2a5705f, v19
	v_add_f32_e32 v5, v8, v5
	v_exp_f32_e32 v5, v5
	v_cvt_i32_f32_e32 v6, v6
	v_cndmask_b32_e32 v2, 0, v2, vcc
	v_cmp_ngt_f32_e32 vcc, s5, v14
	v_ldexp_f32 v5, v5, v6
	v_mul_f32_e32 v6, 0xbfb8aa3b, v20
	v_rndne_f32_e32 v8, v6
	v_sub_f32_e32 v12, v6, v8
	v_fma_f32 v6, v20, s0, -v6
	v_fmac_f32_e32 v6, 0xb2a5705f, v20
	v_add_f32_e32 v6, v12, v6
	v_exp_f32_e32 v6, v6
	v_cvt_i32_f32_e32 v8, v8
	v_cndmask_b32_e32 v2, v7, v2, vcc
	v_cmp_nlt_f32_e32 vcc, s1, v15
	v_ldexp_f32 v6, v6, v8
	v_mul_f32_e32 v8, 0xbfb8aa3b, v9
	v_rndne_f32_e32 v12, v8
	v_cndmask_b32_e32 v3, 0, v3, vcc
	v_cmp_ngt_f32_e32 vcc, s5, v15
	v_sub_f32_e32 v13, v8, v12
	v_fma_f32 v8, v9, s0, -v8
	v_cndmask_b32_e32 v3, v7, v3, vcc
	v_cmp_nlt_f32_e32 vcc, s1, v18
	v_fmac_f32_e32 v8, 0xb2a5705f, v9
	v_add_f32_e32 v8, v13, v8
	v_cndmask_b32_e32 v4, 0, v4, vcc
	v_cmp_ngt_f32_e32 vcc, s5, v18
	v_exp_f32_e32 v8, v8
	v_cvt_i32_f32_e32 v12, v12
	v_cndmask_b32_e32 v4, v7, v4, vcc
	v_cmp_nlt_f32_e32 vcc, s1, v19
	v_pk_add_f32 v[2:3], v[2:3], 1.0 op_sel_hi:[1,0]
	v_ldexp_f32 v8, v8, v12
	v_cndmask_b32_e32 v5, 0, v5, vcc
	v_cmp_ngt_f32_e32 vcc, s5, v19
	s_nop 1
	v_cndmask_b32_e32 v5, v7, v5, vcc
	v_cmp_nlt_f32_e32 vcc, s1, v20
	v_pk_add_f32 v[4:5], v[4:5], 1.0 op_sel_hi:[1,0]
	s_nop 0
	v_cndmask_b32_e32 v6, 0, v6, vcc
	v_cmp_ngt_f32_e32 vcc, s5, v20
	s_nop 1
	v_cndmask_b32_e32 v6, v7, v6, vcc
	v_cmp_nlt_f32_e32 vcc, s1, v9
	s_nop 1
	v_cndmask_b32_e32 v8, 0, v8, vcc
	v_cmp_ngt_f32_e32 vcc, s5, v9
	s_nop 1
	v_cndmask_b32_e32 v7, v7, v8, vcc
	v_div_scale_f32 v8, s[0:1], v0, v0, 1.0
	v_rcp_f32_e32 v9, v8
	v_pk_add_f32 v[6:7], v[6:7], 1.0 op_sel_hi:[1,0]
	v_fma_f32 v12, -v8, v9, 1.0
	v_fmac_f32_e32 v9, v12, v9
	v_div_scale_f32 v12, vcc, 1.0, v0, 1.0
	v_mul_f32_e32 v13, v12, v9
	v_fma_f32 v14, -v8, v13, v12
	v_fmac_f32_e32 v13, v14, v9
	v_fma_f32 v8, -v8, v13, v12
	v_div_scale_f32 v12, s[0:1], v1, v1, 1.0
	v_rcp_f32_e32 v14, v12
	v_div_fmas_f32 v8, v8, v9, v13
	v_div_fixup_f32 v0, v8, v0, 1.0
	v_fma_f32 v8, -v12, v14, 1.0
	v_fmac_f32_e32 v14, v8, v14
	v_div_scale_f32 v8, vcc, 1.0, v1, 1.0
	v_mul_f32_e32 v9, v8, v14
	v_fma_f32 v13, -v12, v9, v8
	v_fmac_f32_e32 v9, v13, v14
	v_fma_f32 v8, -v12, v9, v8
	v_div_scale_f32 v12, s[0:1], v2, v2, 1.0
	v_rcp_f32_e32 v13, v12
	v_div_fmas_f32 v8, v8, v14, v9
	v_div_fixup_f32 v1, v8, v1, 1.0
	;; [unrolled: 11-line block ×7, first 2 shown]
	v_fma_f32 v8, -v12, v14, 1.0
	v_fmac_f32_e32 v14, v8, v14
	v_div_scale_f32 v8, vcc, 1.0, v7, 1.0
	v_mul_f32_e32 v9, v8, v14
	v_fma_f32 v13, -v12, v9, v8
	v_fmac_f32_e32 v9, v13, v14
	v_fma_f32 v8, -v12, v9, v8
	v_div_fmas_f32 v8, v8, v14, v9
	v_div_fixup_f32 v7, v8, v7, 1.0
.LBB8_6:
	v_mov_b32_e32 v12, v0
	v_mov_b32_e32 v13, v1
	;; [unrolled: 1-line block ×8, first 2 shown]
.LBB8_7:
	s_lshr_b32 s6, s4, 8
	s_cmp_gt_i32 s25, 0
	s_cbranch_scc1 .LBB8_9
; %bb.8:
	s_bitcmp1_b32 s6, 0
	s_mov_b64 s[0:1], 0
	s_cselect_b64 s[4:5], -1, 0
	s_branch .LBB8_10
.LBB8_9:
	s_mov_b64 s[0:1], -1
                                        ; implicit-def: $sgpr4_sgpr5
.LBB8_10:
	v_add_u32_e32 v38, 32, v31
	v_add_u32_e32 v37, 64, v31
	v_add_u32_e32 v36, 0x60, v31
	v_add_u32_e32 v35, 0x80, v31
	v_add_u32_e32 v34, 0xa0, v31
	v_add_u32_e32 v33, 0xc0, v31
	v_add_u32_e32 v32, 0xe0, v31
	s_mov_b32 s10, 0
	s_andn2_b64 vcc, exec, s[0:1]
	v_mbcnt_lo_u32_b32 v17, -1, 0
	s_cbranch_vccnz .LBB8_37
; %bb.11:
	global_load_dword v26, v16, s[22:23] offset:256
	global_load_dword v27, v16, s[22:23] offset:384
	;; [unrolled: 1-line block ×6, first 2 shown]
	global_load_dword v28, v16, s[22:23]
	global_load_dword v29, v16, s[22:23] offset:128
	v_mov_b32_e32 v7, 0xff7fffff
	v_cmp_o_f32_e32 vcc, v12, v12
	v_mbcnt_hi_u32_b32 v42, -1, v17
	v_mov_b32_e32 v40, s20
	v_cndmask_b32_e32 v12, v7, v12, vcc
	v_cmp_o_f32_e32 vcc, v13, v13
	v_mov_b32_e32 v41, s21
	v_lshl_add_u64 v[10:11], v[10:11], 2, v[40:41]
	v_cndmask_b32_e32 v13, v7, v13, vcc
	v_cmp_o_f32_e32 vcc, v14, v14
	v_xor_b32_e32 v40, 8, v42
	v_xor_b32_e32 v41, 4, v42
	v_cndmask_b32_e32 v14, v7, v14, vcc
	v_cmp_o_f32_e32 vcc, v15, v15
	v_xor_b32_e32 v43, 2, v42
	v_xor_b32_e32 v44, 1, v42
	v_cndmask_b32_e32 v15, v7, v15, vcc
	v_cmp_o_f32_e32 vcc, v18, v18
	s_bitcmp1_b32 s6, 0
	v_mov_b32_e32 v8, 0
	v_cndmask_b32_e32 v18, v7, v18, vcc
	v_cmp_o_f32_e32 vcc, v19, v19
	v_mov_b32_e32 v39, 0xff800000
	v_mov_b32_e32 v0, 0
	v_cndmask_b32_e32 v19, v7, v19, vcc
	v_cmp_o_f32_e32 vcc, v20, v20
	v_mov_b32_e32 v1, 0
	;; [unrolled: 4-line block ×3, first 2 shown]
	v_mov_b32_e32 v4, 0
	v_cndmask_b32_e32 v21, v7, v9, vcc
	v_and_b32_e32 v7, 0x60, v42
	v_xor_b32_e32 v9, 16, v42
	v_add_u32_e32 v7, 32, v7
	v_cmp_lt_i32_e32 vcc, v9, v7
	v_mov_b32_e32 v5, 0
	v_mov_b32_e32 v6, 0
	v_cndmask_b32_e32 v9, v42, v9, vcc
	v_cmp_lt_i32_e32 vcc, v40, v7
	s_cselect_b64 s[4:5], -1, 0
	v_lshlrev_b32_e32 v9, 2, v9
	v_cndmask_b32_e32 v40, v42, v40, vcc
	v_cmp_lt_i32_e32 vcc, v41, v7
	v_lshlrev_b32_e32 v40, 2, v40
	s_waitcnt vmcnt(6)
	v_pk_add_f32 v[26:27], v[14:15], v[26:27]
	v_cndmask_b32_e32 v41, v42, v41, vcc
	v_cmp_lt_i32_e32 vcc, v43, v7
	v_lshlrev_b32_e32 v41, 2, v41
	s_waitcnt vmcnt(3)
	v_pk_add_f32 v[22:23], v[20:21], v[22:23]
	v_cndmask_b32_e32 v43, v42, v43, vcc
	v_cmp_lt_i32_e32 vcc, v44, v7
	s_waitcnt vmcnt(2)
	v_pk_add_f32 v[24:25], v[18:19], v[24:25]
	s_waitcnt vmcnt(0)
	v_pk_add_f32 v[28:29], v[12:13], v[28:29]
	v_cndmask_b32_e32 v7, v42, v44, vcc
	v_lshlrev_b32_e32 v42, 2, v43
	v_lshlrev_b32_e32 v43, 2, v7
	v_mov_b32_e32 v7, 0
	s_branch .LBB8_13
.LBB8_12:                               ;   in Loop: Header=BB8_13 Depth=1
	s_or_b64 exec, exec, s[0:1]
	s_and_b32 s0, s10, 31
	v_cmp_eq_u32_e32 vcc, s0, v31
	s_lshr_b32 s0, s10, 5
	s_cmp_eq_u32 s0, 0
	s_cselect_b64 s[6:7], -1, 0
	s_cmp_eq_u32 s0, 1
	s_cselect_b64 s[8:9], -1, 0
	;; [unrolled: 2-line block ×8, first 2 shown]
	s_and_b64 s[0:1], vcc, s[0:1]
	v_cndmask_b32_e64 v7, v7, v44, s[0:1]
	s_and_b64 s[0:1], vcc, s[22:23]
	v_cndmask_b32_e64 v6, v6, v44, s[0:1]
	;; [unrolled: 2-line block ×6, first 2 shown]
	s_and_b64 s[0:1], vcc, s[8:9]
	s_and_b64 vcc, vcc, s[6:7]
	s_add_i32 s10, s10, 1
	v_cndmask_b32_e64 v1, v1, v44, s[0:1]
	v_cndmask_b32_e32 v0, v0, v44, vcc
	s_cmp_eq_u32 s25, s10
	v_lshl_add_u64 v[10:11], v[10:11], 0, 4
	s_cbranch_scc1 .LBB8_38
.LBB8_13:                               ; =>This Inner Loop Header: Depth=1
	v_cmp_gt_f32_e32 vcc, v29, v28
	s_nop 1
	v_cndmask_b32_e32 v46, v28, v29, vcc
	v_cndmask_b32_e32 v44, v12, v13, vcc
	v_cndmask_b32_e32 v45, v31, v38, vcc
	v_cmp_gt_f32_e32 vcc, v26, v46
	s_nop 1
	v_cndmask_b32_e32 v46, v46, v26, vcc
	v_cndmask_b32_e32 v44, v44, v14, vcc
	v_cndmask_b32_e32 v45, v45, v37, vcc
	;; [unrolled: 5-line block ×7, first 2 shown]
	ds_bpermute_b32 v49, v9, v46
	s_waitcnt lgkmcnt(2)
	ds_bpermute_b32 v48, v9, v44
	s_waitcnt lgkmcnt(2)
	ds_bpermute_b32 v47, v9, v45
	s_waitcnt lgkmcnt(2)
	v_cmp_lt_f32_e64 s[6:7], v46, v49
	v_cmp_nlt_f32_e32 vcc, v46, v49
	s_and_saveexec_b64 s[8:9], vcc
	s_cbranch_execz .LBB8_15
; %bb.14:                               ;   in Loop: Header=BB8_13 Depth=1
	v_cmp_eq_f32_e32 vcc, v46, v49
	s_waitcnt lgkmcnt(0)
	v_cmp_lt_i32_e64 s[0:1], v47, v45
	s_and_b64 s[0:1], vcc, s[0:1]
	s_andn2_b64 s[6:7], s[6:7], exec
	s_and_b64 s[0:1], s[0:1], exec
	s_or_b64 s[6:7], s[6:7], s[0:1]
.LBB8_15:                               ;   in Loop: Header=BB8_13 Depth=1
	s_or_b64 exec, exec, s[8:9]
	s_and_saveexec_b64 s[0:1], s[6:7]
	s_cbranch_execz .LBB8_17
; %bb.16:                               ;   in Loop: Header=BB8_13 Depth=1
	v_mov_b32_e32 v46, v49
	s_waitcnt lgkmcnt(1)
	v_mov_b32_e32 v44, v48
	s_waitcnt lgkmcnt(0)
	v_mov_b32_e32 v45, v47
.LBB8_17:                               ;   in Loop: Header=BB8_13 Depth=1
	s_or_b64 exec, exec, s[0:1]
	ds_bpermute_b32 v49, v40, v46
	s_waitcnt lgkmcnt(2)
	ds_bpermute_b32 v48, v40, v44
	s_waitcnt lgkmcnt(2)
	ds_bpermute_b32 v47, v40, v45
	s_waitcnt lgkmcnt(2)
	v_cmp_lt_f32_e64 s[6:7], v46, v49
	v_cmp_nlt_f32_e32 vcc, v46, v49
	s_and_saveexec_b64 s[8:9], vcc
	s_cbranch_execz .LBB8_19
; %bb.18:                               ;   in Loop: Header=BB8_13 Depth=1
	v_cmp_eq_f32_e32 vcc, v46, v49
	s_waitcnt lgkmcnt(0)
	v_cmp_lt_i32_e64 s[0:1], v47, v45
	s_and_b64 s[0:1], vcc, s[0:1]
	s_andn2_b64 s[6:7], s[6:7], exec
	s_and_b64 s[0:1], s[0:1], exec
	s_or_b64 s[6:7], s[6:7], s[0:1]
.LBB8_19:                               ;   in Loop: Header=BB8_13 Depth=1
	s_or_b64 exec, exec, s[8:9]
	s_and_saveexec_b64 s[0:1], s[6:7]
	s_cbranch_execz .LBB8_21
; %bb.20:                               ;   in Loop: Header=BB8_13 Depth=1
	v_mov_b32_e32 v46, v49
	s_waitcnt lgkmcnt(1)
	v_mov_b32_e32 v44, v48
	s_waitcnt lgkmcnt(0)
	v_mov_b32_e32 v45, v47
.LBB8_21:                               ;   in Loop: Header=BB8_13 Depth=1
	s_or_b64 exec, exec, s[0:1]
	;; [unrolled: 30-line block ×4, first 2 shown]
	ds_bpermute_b32 v49, v43, v46
	s_waitcnt lgkmcnt(2)
	ds_bpermute_b32 v48, v43, v44
	s_waitcnt lgkmcnt(2)
	ds_bpermute_b32 v47, v43, v45
	s_waitcnt lgkmcnt(2)
	v_cmp_lt_f32_e64 s[6:7], v46, v49
	v_cmp_nlt_f32_e32 vcc, v46, v49
	s_and_saveexec_b64 s[8:9], vcc
	s_cbranch_execz .LBB8_31
; %bb.30:                               ;   in Loop: Header=BB8_13 Depth=1
	v_cmp_eq_f32_e32 vcc, v46, v49
	s_waitcnt lgkmcnt(0)
	v_cmp_lt_i32_e64 s[0:1], v47, v45
	s_and_b64 s[0:1], vcc, s[0:1]
	s_andn2_b64 s[6:7], s[6:7], exec
	s_and_b64 s[0:1], s[0:1], exec
	s_or_b64 s[6:7], s[6:7], s[0:1]
.LBB8_31:                               ;   in Loop: Header=BB8_13 Depth=1
	s_or_b64 exec, exec, s[8:9]
	s_and_saveexec_b64 s[0:1], s[6:7]
	s_cbranch_execz .LBB8_33
; %bb.32:                               ;   in Loop: Header=BB8_13 Depth=1
	s_waitcnt lgkmcnt(1)
	v_mov_b32_e32 v44, v48
	s_waitcnt lgkmcnt(0)
	v_mov_b32_e32 v45, v47
.LBB8_33:                               ;   in Loop: Header=BB8_13 Depth=1
	s_or_b64 exec, exec, s[0:1]
	v_and_b32_e32 v46, 31, v45
	v_cmp_eq_u32_e32 vcc, v46, v31
	s_and_saveexec_b64 s[6:7], vcc
	s_cbranch_execz .LBB8_35
; %bb.34:                               ;   in Loop: Header=BB8_13 Depth=1
	v_ashrrev_i32_e32 v46, 31, v45
	v_lshrrev_b32_e32 v46, 27, v46
	v_add_u32_e32 v46, v45, v46
	v_ashrrev_i32_e32 v46, 5, v46
	v_cmp_ne_u32_e64 s[0:1], 7, v46
	s_nop 1
	v_cndmask_b32_e64 v23, v39, v23, s[0:1]
	v_cmp_ne_u32_e64 s[0:1], 6, v46
	s_nop 1
	v_cndmask_b32_e64 v22, v39, v22, s[0:1]
	;; [unrolled: 3-line block ×8, first 2 shown]
.LBB8_35:                               ;   in Loop: Header=BB8_13 Depth=1
	s_or_b64 exec, exec, s[6:7]
	s_and_saveexec_b64 s[0:1], vcc
	s_cbranch_execz .LBB8_12
; %bb.36:                               ;   in Loop: Header=BB8_13 Depth=1
	v_add_f32_e32 v46, v8, v44
	v_cndmask_b32_e64 v8, v8, v46, s[4:5]
	global_store_dword v[10:11], v45, off
	s_branch .LBB8_12
.LBB8_37:
	v_mov_b32_e32 v8, 0
	v_mov_b32_e32 v9, v8
	;; [unrolled: 1-line block ×8, first 2 shown]
	v_mov_b64_e32 v[0:1], v[8:9]
	v_mov_b64_e32 v[2:3], v[10:11]
	;; [unrolled: 1-line block ×4, first 2 shown]
.LBB8_38:
	s_and_b64 vcc, exec, s[4:5]
	s_cbranch_vccz .LBB8_40
; %bb.39:
	v_mbcnt_hi_u32_b32 v9, -1, v17
	v_and_b32_e32 v10, 0x60, v9
	v_add_u32_e32 v10, 32, v10
	v_xor_b32_e32 v11, 16, v9
	v_cmp_lt_i32_e32 vcc, v11, v10
	v_xor_b32_e32 v12, 8, v9
	s_nop 0
	v_cndmask_b32_e32 v11, v9, v11, vcc
	v_lshlrev_b32_e32 v11, 2, v11
	ds_bpermute_b32 v11, v11, v8
	v_cmp_lt_i32_e32 vcc, v12, v10
	s_waitcnt lgkmcnt(0)
	v_add_f32_e32 v8, v8, v11
	v_cndmask_b32_e32 v11, v9, v12, vcc
	v_lshlrev_b32_e32 v11, 2, v11
	ds_bpermute_b32 v11, v11, v8
	v_xor_b32_e32 v12, 4, v9
	v_cmp_lt_i32_e32 vcc, v12, v10
	s_waitcnt lgkmcnt(0)
	v_add_f32_e32 v8, v8, v11
	v_cndmask_b32_e32 v11, v9, v12, vcc
	v_lshlrev_b32_e32 v11, 2, v11
	ds_bpermute_b32 v11, v11, v8
	v_xor_b32_e32 v12, 2, v9
	;; [unrolled: 7-line block ×3, first 2 shown]
	v_cmp_lt_i32_e32 vcc, v12, v10
	v_max_f32_e64 v10, s26, s26
	s_waitcnt lgkmcnt(0)
	v_add_f32_e32 v8, v8, v11
	v_cndmask_b32_e32 v9, v9, v12, vcc
	v_lshlrev_b32_e32 v9, 2, v9
	ds_bpermute_b32 v9, v9, v8
	s_waitcnt lgkmcnt(0)
	v_add_f32_e32 v8, v8, v9
	v_max_f32_e32 v8, v8, v10
	v_div_scale_f32 v9, s[0:1], v8, v8, 1.0
	v_rcp_f32_e32 v10, v9
	v_div_scale_f32 v11, vcc, 1.0, v8, 1.0
	v_fma_f32 v12, -v9, v10, 1.0
	v_fmac_f32_e32 v10, v12, v10
	v_mul_f32_e32 v12, v11, v10
	v_fma_f32 v13, -v9, v12, v11
	v_fmac_f32_e32 v12, v13, v10
	v_fma_f32 v9, -v9, v12, v11
	v_div_fmas_f32 v9, v9, v10, v12
	v_div_fixup_f32 v8, v9, v8, 1.0
	v_pk_mul_f32 v[6:7], v[8:9], v[6:7] op_sel_hi:[0,1]
	v_pk_mul_f32 v[4:5], v[8:9], v[4:5] op_sel_hi:[0,1]
	;; [unrolled: 1-line block ×4, first 2 shown]
.LBB8_40:
	s_andn2_b64 vcc, exec, s[2:3]
	v_cmp_gt_i32_e64 s[12:13], s25, v38
	v_cmp_gt_i32_e64 s[10:11], s25, v37
	;; [unrolled: 1-line block ×8, first 2 shown]
	s_cbranch_vccnz .LBB8_42
; %bb.41:
	v_max_f32_e32 v8, v0, v0
	v_max_f32_e32 v8, 0xff800000, v8
	v_mov_b32_e32 v9, 0xff800000
	v_cndmask_b32_e64 v8, v9, v8, s[14:15]
	v_max_f32_e32 v9, v1, v1
	v_max_f32_e32 v9, v8, v9
	v_cndmask_b32_e64 v8, v8, v9, s[12:13]
	v_max_f32_e32 v9, v2, v2
	v_max_f32_e32 v9, v8, v9
	;; [unrolled: 3-line block ×5, first 2 shown]
	v_max_f32_e32 v9, v9, v10
	v_cndmask_b32_e64 v8, v8, v9, s[4:5]
	v_max_f32_e32 v9, v8, v8
	v_max_f32_e32 v10, v6, v6
	;; [unrolled: 1-line block ×3, first 2 shown]
	v_cndmask_b32_e64 v8, v8, v9, s[2:3]
	v_max_f32_e32 v9, v8, v8
	v_max_f32_e32 v10, v7, v7
	;; [unrolled: 1-line block ×3, first 2 shown]
	v_cndmask_b32_e64 v8, v8, v9, s[0:1]
	v_mbcnt_hi_u32_b32 v9, -1, v17
	v_and_b32_e32 v10, 0x60, v9
	v_add_u32_e32 v10, 32, v10
	v_xor_b32_e32 v11, 16, v9
	v_cmp_lt_i32_e32 vcc, v11, v10
	s_mov_b32 s16, 0x3fb8aa3b
	s_mov_b32 s17, 0xc2ce8ed0
	v_cndmask_b32_e32 v11, v9, v11, vcc
	v_lshlrev_b32_e32 v11, 2, v11
	ds_bpermute_b32 v12, v11, v8
	v_max_f32_e32 v8, v8, v8
	s_mov_b32 s20, 0x42b17218
	s_waitcnt lgkmcnt(0)
	v_max_f32_e32 v12, v12, v12
	v_max_f32_e32 v8, v8, v12
	v_xor_b32_e32 v12, 8, v9
	v_cmp_lt_i32_e32 vcc, v12, v10
	s_nop 1
	v_cndmask_b32_e32 v12, v9, v12, vcc
	v_lshlrev_b32_e32 v12, 2, v12
	ds_bpermute_b32 v13, v12, v8
	s_waitcnt lgkmcnt(0)
	v_max_f32_e32 v13, v13, v13
	v_max_f32_e32 v8, v8, v13
	v_xor_b32_e32 v13, 4, v9
	v_cmp_lt_i32_e32 vcc, v13, v10
	s_nop 1
	v_cndmask_b32_e32 v13, v9, v13, vcc
	v_lshlrev_b32_e32 v13, 2, v13
	ds_bpermute_b32 v14, v13, v8
	;; [unrolled: 9-line block ×4, first 2 shown]
	s_waitcnt lgkmcnt(0)
	v_max_f32_e32 v10, v10, v10
	v_max_f32_e32 v8, v8, v10
	v_sub_f32_e32 v0, v0, v8
	v_mul_f32_e32 v10, 0x3fb8aa3b, v0
	v_fma_f32 v15, v0, s16, -v10
	v_rndne_f32_e32 v17, v10
	v_fmac_f32_e32 v15, 0x32a5705f, v0
	v_sub_f32_e32 v10, v10, v17
	v_sub_f32_e32 v1, v1, v8
	v_add_f32_e32 v10, v10, v15
	v_cvt_i32_f32_e32 v15, v17
	v_mul_f32_e32 v17, 0x3fb8aa3b, v1
	v_fma_f32 v18, v1, s16, -v17
	v_rndne_f32_e32 v19, v17
	v_exp_f32_e32 v10, v10
	v_fmac_f32_e32 v18, 0x32a5705f, v1
	v_sub_f32_e32 v17, v17, v19
	v_add_f32_e32 v17, v17, v18
	v_exp_f32_e32 v17, v17
	v_cvt_i32_f32_e32 v18, v19
	v_ldexp_f32 v10, v10, v15
	v_cmp_ngt_f32_e32 vcc, s17, v0
	v_mov_b32_e32 v15, 0x7f800000
	v_sub_f32_e32 v2, v2, v8
	v_cndmask_b32_e32 v10, 0, v10, vcc
	v_cmp_nlt_f32_e32 vcc, s20, v0
	v_sub_f32_e32 v3, v3, v8
	v_sub_f32_e32 v4, v4, v8
	v_cndmask_b32_e32 v0, v15, v10, vcc
	v_ldexp_f32 v10, v17, v18
	v_mul_f32_e32 v17, 0x3fb8aa3b, v2
	v_fma_f32 v18, v2, s16, -v17
	v_rndne_f32_e32 v19, v17
	v_fmac_f32_e32 v18, 0x32a5705f, v2
	v_sub_f32_e32 v17, v17, v19
	v_add_f32_e32 v17, v17, v18
	v_exp_f32_e32 v17, v17
	v_cvt_i32_f32_e32 v18, v19
	v_cmp_ngt_f32_e32 vcc, s17, v1
	v_cndmask_b32_e64 v0, 0, v0, s[14:15]
	v_sub_f32_e32 v5, v5, v8
	v_ldexp_f32 v17, v17, v18
	v_mul_f32_e32 v18, 0x3fb8aa3b, v3
	v_fma_f32 v19, v3, s16, -v18
	v_rndne_f32_e32 v20, v18
	v_fmac_f32_e32 v19, 0x32a5705f, v3
	v_sub_f32_e32 v18, v18, v20
	v_cndmask_b32_e32 v10, 0, v10, vcc
	v_cmp_nlt_f32_e32 vcc, s20, v1
	v_add_f32_e32 v18, v18, v19
	v_exp_f32_e32 v18, v18
	v_cndmask_b32_e32 v1, v15, v10, vcc
	v_cmp_ngt_f32_e32 vcc, s17, v2
	v_cvt_i32_f32_e32 v19, v20
	v_add_f32_e32 v10, v1, v0
	v_cndmask_b32_e32 v17, 0, v17, vcc
	v_cmp_nlt_f32_e32 vcc, s20, v2
	v_cndmask_b32_e64 v10, v0, v10, s[12:13]
	v_sub_f32_e32 v6, v6, v8
	v_cndmask_b32_e32 v2, v15, v17, vcc
	v_add_f32_e32 v17, v10, v2
	v_cndmask_b32_e64 v10, v10, v17, s[10:11]
	v_ldexp_f32 v17, v18, v19
	v_mul_f32_e32 v18, 0x3fb8aa3b, v4
	v_fma_f32 v19, v4, s16, -v18
	v_rndne_f32_e32 v20, v18
	v_fmac_f32_e32 v19, 0x32a5705f, v4
	v_sub_f32_e32 v18, v18, v20
	v_add_f32_e32 v18, v18, v19
	v_cmp_ngt_f32_e32 vcc, s17, v3
	v_exp_f32_e32 v18, v18
	v_cvt_i32_f32_e32 v19, v20
	v_cndmask_b32_e32 v17, 0, v17, vcc
	v_cmp_nlt_f32_e32 vcc, s20, v3
	v_sub_f32_e32 v7, v7, v8
	v_mul_f32_e32 v8, 0x3fb8aa3b, v7
	v_cndmask_b32_e32 v3, v15, v17, vcc
	v_add_f32_e32 v17, v10, v3
	v_cndmask_b32_e64 v10, v10, v17, s[8:9]
	v_ldexp_f32 v17, v18, v19
	v_mul_f32_e32 v18, 0x3fb8aa3b, v5
	v_fma_f32 v19, v5, s16, -v18
	v_rndne_f32_e32 v20, v18
	v_fmac_f32_e32 v19, 0x32a5705f, v5
	v_sub_f32_e32 v18, v18, v20
	v_add_f32_e32 v18, v18, v19
	v_cmp_ngt_f32_e32 vcc, s17, v4
	v_exp_f32_e32 v18, v18
	v_cvt_i32_f32_e32 v19, v20
	v_cndmask_b32_e32 v17, 0, v17, vcc
	v_cmp_nlt_f32_e32 vcc, s20, v4
	v_cndmask_b32_e64 v1, 0, v1, s[12:13]
	v_cndmask_b32_e64 v2, 0, v2, s[10:11]
	v_cndmask_b32_e32 v4, v15, v17, vcc
	v_add_f32_e32 v17, v10, v4
	v_cndmask_b32_e64 v10, v10, v17, s[6:7]
	v_ldexp_f32 v17, v18, v19
	v_mul_f32_e32 v18, 0x3fb8aa3b, v6
	v_fma_f32 v19, v6, s16, -v18
	v_rndne_f32_e32 v20, v18
	v_fmac_f32_e32 v19, 0x32a5705f, v6
	v_sub_f32_e32 v18, v18, v20
	v_add_f32_e32 v18, v18, v19
	v_cmp_ngt_f32_e32 vcc, s17, v5
	v_exp_f32_e32 v18, v18
	v_cvt_i32_f32_e32 v19, v20
	v_cndmask_b32_e32 v17, 0, v17, vcc
	v_cmp_nlt_f32_e32 vcc, s20, v5
	v_cndmask_b32_e64 v3, 0, v3, s[8:9]
	v_cndmask_b32_e64 v4, 0, v4, s[6:7]
	v_cndmask_b32_e32 v5, v15, v17, vcc
	v_add_f32_e32 v17, v10, v5
	v_cndmask_b32_e64 v10, v10, v17, s[4:5]
	v_ldexp_f32 v17, v18, v19
	v_fma_f32 v18, v7, s16, -v8
	v_rndne_f32_e32 v19, v8
	v_fmac_f32_e32 v18, 0x32a5705f, v7
	v_sub_f32_e32 v8, v8, v19
	v_add_f32_e32 v8, v8, v18
	v_exp_f32_e32 v8, v8
	v_cvt_i32_f32_e32 v18, v19
	v_cmp_ngt_f32_e32 vcc, s17, v6
	v_cndmask_b32_e64 v5, 0, v5, s[4:5]
	v_ldexp_f32 v8, v8, v18
	v_cndmask_b32_e32 v17, 0, v17, vcc
	v_cmp_nlt_f32_e32 vcc, s20, v6
	s_nop 1
	v_cndmask_b32_e32 v6, v15, v17, vcc
	v_cmp_ngt_f32_e32 vcc, s17, v7
	v_add_f32_e32 v17, v10, v6
	v_cndmask_b32_e64 v10, v10, v17, s[2:3]
	v_cndmask_b32_e32 v8, 0, v8, vcc
	v_cmp_nlt_f32_e32 vcc, s20, v7
	v_cndmask_b32_e64 v6, 0, v6, s[2:3]
	s_nop 0
	v_cndmask_b32_e32 v7, v15, v8, vcc
	v_add_f32_e32 v8, v10, v7
	v_cndmask_b32_e64 v8, v10, v8, s[0:1]
	ds_bpermute_b32 v10, v11, v8
	v_cndmask_b32_e64 v7, 0, v7, s[0:1]
	s_waitcnt lgkmcnt(0)
	v_add_f32_e32 v8, v8, v10
	ds_bpermute_b32 v10, v12, v8
	s_waitcnt lgkmcnt(0)
	v_add_f32_e32 v8, v8, v10
	ds_bpermute_b32 v10, v13, v8
	;; [unrolled: 3-line block ×4, first 2 shown]
	s_waitcnt lgkmcnt(0)
	v_add_f32_e32 v8, v8, v9
	v_div_scale_f32 v9, s[16:17], v8, v8, 1.0
	v_rcp_f32_e32 v10, v9
	s_nop 0
	v_fma_f32 v11, -v9, v10, 1.0
	v_fmac_f32_e32 v10, v11, v10
	v_div_scale_f32 v11, vcc, 1.0, v8, 1.0
	v_mul_f32_e32 v12, v11, v10
	v_fma_f32 v13, -v9, v12, v11
	v_fmac_f32_e32 v12, v13, v10
	v_fma_f32 v9, -v9, v12, v11
	v_div_fmas_f32 v9, v9, v10, v12
	v_div_fixup_f32 v8, v9, v8, 1.0
	v_mul_f32_e32 v9, v0, v8
	v_cndmask_b32_e64 v0, v0, v9, s[14:15]
	v_mul_f32_e32 v9, v1, v8
	v_cndmask_b32_e64 v1, v1, v9, s[12:13]
	;; [unrolled: 2-line block ×6, first 2 shown]
	v_mul_f32_e32 v9, v6, v8
	v_mul_f32_e32 v8, v7, v8
	v_cndmask_b32_e64 v6, v6, v9, s[2:3]
	v_cndmask_b32_e64 v7, v7, v8, s[0:1]
.LBB8_42:
	v_mul_lo_u32 v10, v30, s25
	v_mov_b32_e32 v8, s18
	v_mov_b32_e32 v9, s19
	v_ashrrev_i32_e32 v11, 31, v10
	v_lshl_add_u64 v[8:9], v[10:11], 2, v[8:9]
	v_cmp_gt_i32_e32 vcc, s25, v31
	s_and_saveexec_b64 s[0:1], vcc
	s_cbranch_execnz .LBB8_52
; %bb.43:
	s_or_b64 exec, exec, s[0:1]
	v_cmp_gt_i32_e32 vcc, s25, v38
	s_and_saveexec_b64 s[0:1], vcc
	s_cbranch_execnz .LBB8_53
.LBB8_44:
	s_or_b64 exec, exec, s[0:1]
	v_cmp_gt_i32_e32 vcc, s25, v37
	s_and_saveexec_b64 s[0:1], vcc
	s_cbranch_execnz .LBB8_54
.LBB8_45:
	s_or_b64 exec, exec, s[0:1]
	v_cmp_gt_i32_e32 vcc, s25, v36
	s_and_saveexec_b64 s[0:1], vcc
	s_cbranch_execnz .LBB8_55
.LBB8_46:
	s_or_b64 exec, exec, s[0:1]
	v_cmp_gt_i32_e32 vcc, s25, v35
	s_and_saveexec_b64 s[0:1], vcc
	s_cbranch_execnz .LBB8_56
.LBB8_47:
	s_or_b64 exec, exec, s[0:1]
	v_cmp_gt_i32_e32 vcc, s25, v34
	s_and_saveexec_b64 s[0:1], vcc
	s_cbranch_execnz .LBB8_57
.LBB8_48:
	s_or_b64 exec, exec, s[0:1]
	v_cmp_gt_i32_e32 vcc, s25, v33
	s_and_saveexec_b64 s[0:1], vcc
	s_cbranch_execnz .LBB8_58
.LBB8_49:
	s_or_b64 exec, exec, s[0:1]
	v_cmp_gt_i32_e32 vcc, s25, v32
	s_and_b64 exec, exec, vcc
	s_cbranch_execz .LBB8_51
.LBB8_50:
	v_mov_b32_e32 v17, 0
	v_lshl_add_u64 v[0:1], v[8:9], 0, v[16:17]
	v_mul_f32_e32 v2, s27, v7
	global_store_dword v[0:1], v2, off offset:896
.LBB8_51:
	s_endpgm
.LBB8_52:
	v_mov_b32_e32 v17, 0
	v_lshl_add_u64 v[10:11], v[8:9], 0, v[16:17]
	v_mul_f32_e32 v0, s27, v0
	global_store_dword v[10:11], v0, off
	s_or_b64 exec, exec, s[0:1]
	v_cmp_gt_i32_e32 vcc, s25, v38
	s_and_saveexec_b64 s[0:1], vcc
	s_cbranch_execz .LBB8_44
.LBB8_53:
	v_mov_b32_e32 v17, 0
	v_lshl_add_u64 v[10:11], v[8:9], 0, v[16:17]
	v_mul_f32_e32 v0, s27, v1
	global_store_dword v[10:11], v0, off offset:128
	s_or_b64 exec, exec, s[0:1]
	v_cmp_gt_i32_e32 vcc, s25, v37
	s_and_saveexec_b64 s[0:1], vcc
	s_cbranch_execz .LBB8_45
.LBB8_54:
	v_mov_b32_e32 v17, 0
	v_lshl_add_u64 v[0:1], v[8:9], 0, v[16:17]
	v_mul_f32_e32 v2, s27, v2
	global_store_dword v[0:1], v2, off offset:256
	s_or_b64 exec, exec, s[0:1]
	v_cmp_gt_i32_e32 vcc, s25, v36
	s_and_saveexec_b64 s[0:1], vcc
	s_cbranch_execz .LBB8_46
.LBB8_55:
	v_mov_b32_e32 v17, 0
	v_lshl_add_u64 v[0:1], v[8:9], 0, v[16:17]
	v_mul_f32_e32 v2, s27, v3
	global_store_dword v[0:1], v2, off offset:384
	s_or_b64 exec, exec, s[0:1]
	v_cmp_gt_i32_e32 vcc, s25, v35
	s_and_saveexec_b64 s[0:1], vcc
	s_cbranch_execz .LBB8_47
.LBB8_56:
	v_mov_b32_e32 v17, 0
	v_lshl_add_u64 v[0:1], v[8:9], 0, v[16:17]
	v_mul_f32_e32 v2, s27, v4
	global_store_dword v[0:1], v2, off offset:512
	s_or_b64 exec, exec, s[0:1]
	v_cmp_gt_i32_e32 vcc, s25, v34
	s_and_saveexec_b64 s[0:1], vcc
	s_cbranch_execz .LBB8_48
.LBB8_57:
	v_mov_b32_e32 v17, 0
	v_lshl_add_u64 v[0:1], v[8:9], 0, v[16:17]
	v_mul_f32_e32 v2, s27, v5
	global_store_dword v[0:1], v2, off offset:640
	s_or_b64 exec, exec, s[0:1]
	v_cmp_gt_i32_e32 vcc, s25, v33
	s_and_saveexec_b64 s[0:1], vcc
	s_cbranch_execz .LBB8_49
.LBB8_58:
	v_mov_b32_e32 v17, 0
	v_lshl_add_u64 v[0:1], v[8:9], 0, v[16:17]
	v_mul_f32_e32 v2, s27, v6
	global_store_dword v[0:1], v2, off offset:768
	s_or_b64 exec, exec, s[0:1]
	v_cmp_gt_i32_e32 vcc, s25, v32
	s_and_b64 exec, exec, vcc
	s_cbranch_execnz .LBB8_50
	s_branch .LBB8_51
	.section	.rodata,"a",@progbits
	.p2align	6, 0x0
	.amdhsa_kernel _Z13topk_moe_cudaILi256ELb1EEvPKfPfPiS2_iiff15topk_moe_config
		.amdhsa_group_segment_fixed_size 0
		.amdhsa_private_segment_fixed_size 0
		.amdhsa_kernarg_size 312
		.amdhsa_user_sgpr_count 2
		.amdhsa_user_sgpr_dispatch_ptr 0
		.amdhsa_user_sgpr_queue_ptr 0
		.amdhsa_user_sgpr_kernarg_segment_ptr 1
		.amdhsa_user_sgpr_dispatch_id 0
		.amdhsa_user_sgpr_kernarg_preload_length 0
		.amdhsa_user_sgpr_kernarg_preload_offset 0
		.amdhsa_user_sgpr_private_segment_size 0
		.amdhsa_uses_dynamic_stack 0
		.amdhsa_enable_private_segment 0
		.amdhsa_system_sgpr_workgroup_id_x 1
		.amdhsa_system_sgpr_workgroup_id_y 0
		.amdhsa_system_sgpr_workgroup_id_z 0
		.amdhsa_system_sgpr_workgroup_info 0
		.amdhsa_system_vgpr_workitem_id 1
		.amdhsa_next_free_vgpr 50
		.amdhsa_next_free_sgpr 28
		.amdhsa_accum_offset 52
		.amdhsa_reserve_vcc 1
		.amdhsa_float_round_mode_32 0
		.amdhsa_float_round_mode_16_64 0
		.amdhsa_float_denorm_mode_32 3
		.amdhsa_float_denorm_mode_16_64 3
		.amdhsa_dx10_clamp 1
		.amdhsa_ieee_mode 1
		.amdhsa_fp16_overflow 0
		.amdhsa_tg_split 0
		.amdhsa_exception_fp_ieee_invalid_op 0
		.amdhsa_exception_fp_denorm_src 0
		.amdhsa_exception_fp_ieee_div_zero 0
		.amdhsa_exception_fp_ieee_overflow 0
		.amdhsa_exception_fp_ieee_underflow 0
		.amdhsa_exception_fp_ieee_inexact 0
		.amdhsa_exception_int_div_zero 0
	.end_amdhsa_kernel
	.section	.text._Z13topk_moe_cudaILi256ELb1EEvPKfPfPiS2_iiff15topk_moe_config,"axG",@progbits,_Z13topk_moe_cudaILi256ELb1EEvPKfPfPiS2_iiff15topk_moe_config,comdat
.Lfunc_end8:
	.size	_Z13topk_moe_cudaILi256ELb1EEvPKfPfPiS2_iiff15topk_moe_config, .Lfunc_end8-_Z13topk_moe_cudaILi256ELb1EEvPKfPfPiS2_iiff15topk_moe_config
                                        ; -- End function
	.set _Z13topk_moe_cudaILi256ELb1EEvPKfPfPiS2_iiff15topk_moe_config.num_vgpr, 50
	.set _Z13topk_moe_cudaILi256ELb1EEvPKfPfPiS2_iiff15topk_moe_config.num_agpr, 0
	.set _Z13topk_moe_cudaILi256ELb1EEvPKfPfPiS2_iiff15topk_moe_config.numbered_sgpr, 28
	.set _Z13topk_moe_cudaILi256ELb1EEvPKfPfPiS2_iiff15topk_moe_config.num_named_barrier, 0
	.set _Z13topk_moe_cudaILi256ELb1EEvPKfPfPiS2_iiff15topk_moe_config.private_seg_size, 0
	.set _Z13topk_moe_cudaILi256ELb1EEvPKfPfPiS2_iiff15topk_moe_config.uses_vcc, 1
	.set _Z13topk_moe_cudaILi256ELb1EEvPKfPfPiS2_iiff15topk_moe_config.uses_flat_scratch, 0
	.set _Z13topk_moe_cudaILi256ELb1EEvPKfPfPiS2_iiff15topk_moe_config.has_dyn_sized_stack, 0
	.set _Z13topk_moe_cudaILi256ELb1EEvPKfPfPiS2_iiff15topk_moe_config.has_recursion, 0
	.set _Z13topk_moe_cudaILi256ELb1EEvPKfPfPiS2_iiff15topk_moe_config.has_indirect_call, 0
	.section	.AMDGPU.csdata,"",@progbits
; Kernel info:
; codeLenInByte = 6524
; TotalNumSgprs: 34
; NumVgprs: 50
; NumAgprs: 0
; TotalNumVgprs: 50
; ScratchSize: 0
; MemoryBound: 0
; FloatMode: 240
; IeeeMode: 1
; LDSByteSize: 0 bytes/workgroup (compile time only)
; SGPRBlocks: 4
; VGPRBlocks: 6
; NumSGPRsForWavesPerEU: 34
; NumVGPRsForWavesPerEU: 50
; AccumOffset: 52
; Occupancy: 8
; WaveLimiterHint : 1
; COMPUTE_PGM_RSRC2:SCRATCH_EN: 0
; COMPUTE_PGM_RSRC2:USER_SGPR: 2
; COMPUTE_PGM_RSRC2:TRAP_HANDLER: 0
; COMPUTE_PGM_RSRC2:TGID_X_EN: 1
; COMPUTE_PGM_RSRC2:TGID_Y_EN: 0
; COMPUTE_PGM_RSRC2:TGID_Z_EN: 0
; COMPUTE_PGM_RSRC2:TIDIG_COMP_CNT: 1
; COMPUTE_PGM_RSRC3_GFX90A:ACCUM_OFFSET: 12
; COMPUTE_PGM_RSRC3_GFX90A:TG_SPLIT: 0
	.section	.text._Z13topk_moe_cudaILi512ELb1EEvPKfPfPiS2_iiff15topk_moe_config,"axG",@progbits,_Z13topk_moe_cudaILi512ELb1EEvPKfPfPiS2_iiff15topk_moe_config,comdat
	.protected	_Z13topk_moe_cudaILi512ELb1EEvPKfPfPiS2_iiff15topk_moe_config ; -- Begin function _Z13topk_moe_cudaILi512ELb1EEvPKfPfPiS2_iiff15topk_moe_config
	.globl	_Z13topk_moe_cudaILi512ELb1EEvPKfPfPiS2_iiff15topk_moe_config
	.p2align	8
	.type	_Z13topk_moe_cudaILi512ELb1EEvPKfPfPiS2_iiff15topk_moe_config,@function
_Z13topk_moe_cudaILi512ELb1EEvPKfPfPiS2_iiff15topk_moe_config: ; @_Z13topk_moe_cudaILi512ELb1EEvPKfPfPiS2_iiff15topk_moe_config
; %bb.0:
	s_load_dword s3, s[0:1], 0x44
	s_load_dwordx4 s[44:47], s[0:1], 0x20
	v_bfe_u32 v1, v0, 10, 10
	s_waitcnt lgkmcnt(0)
	s_lshr_b32 s3, s3, 16
	s_mul_i32 s2, s2, s3
	v_add_u32_e32 v70, s2, v1
	v_cmp_gt_i32_e32 vcc, s44, v70
	s_and_saveexec_b64 s[2:3], vcc
	s_cbranch_execz .LBB9_59
; %bb.1:
	s_load_dwordx8 s[36:43], s[0:1], 0x0
	v_lshlrev_b32_e32 v2, 9, v70
	v_ashrrev_i32_e32 v3, 31, v2
	v_and_b32_e32 v71, 0x3ff, v0
	v_mov_b32_e32 v35, 0
	s_waitcnt lgkmcnt(0)
	v_mov_b32_e32 v4, s36
	v_mov_b32_e32 v5, s37
	v_lshl_add_u64 v[4:5], v[2:3], 2, v[4:5]
	v_lshlrev_b32_e32 v34, 2, v71
	v_lshl_add_u64 v[4:5], v[4:5], 0, v[34:35]
	global_load_dword v33, v[4:5], off
	global_load_dword v32, v[4:5], off offset:128
	global_load_dword v31, v[4:5], off offset:256
	;; [unrolled: 1-line block ×15, first 2 shown]
	global_load_ushort v1, v35, s[0:1] offset:48
	s_load_dword s0, s[0:1], 0x30
	s_waitcnt vmcnt(0)
	v_readfirstlane_b32 s1, v1
	s_and_b32 s4, 0xffff, s1
	s_waitcnt lgkmcnt(0)
	s_bitcmp1_b32 s0, 16
	s_cselect_b64 s[2:3], -1, 0
	s_and_b64 vcc, exec, s[2:3]
	s_cbranch_vccnz .LBB9_7
; %bb.2:
	v_and_b32_e32 v0, 1, v1
	v_cmp_eq_u32_e32 vcc, 0, v0
	s_cbranch_vccz .LBB9_4
; %bb.3:
	s_mov_b32 s0, 0xff800000
	v_max3_f32 v0, v33, s0, v32
	v_max3_f32 v0, v0, v31, v30
	v_mbcnt_lo_u32_b32 v1, -1, 0
	v_max3_f32 v0, v0, v29, v28
	v_mbcnt_hi_u32_b32 v1, -1, v1
	v_max3_f32 v0, v0, v27, v26
	v_and_b32_e32 v4, 0x60, v1
	v_max3_f32 v0, v0, v25, v24
	v_add_u32_e32 v4, 32, v4
	v_xor_b32_e32 v5, 16, v1
	v_max3_f32 v0, v0, v23, v22
	v_cmp_lt_i32_e32 vcc, v5, v4
	v_max3_f32 v0, v0, v21, v20
	v_max3_f32 v0, v0, v19, v18
	v_cndmask_b32_e32 v5, v1, v5, vcc
	v_lshlrev_b32_e32 v35, 2, v5
	ds_bpermute_b32 v5, v35, v0
	s_mov_b32 s1, 0x3fb8aa3b
	s_mov_b32 s0, 0xc2ce8ed0
	;; [unrolled: 1-line block ×3, first 2 shown]
	v_mov_b32_e32 v9, 0x7f800000
	s_waitcnt lgkmcnt(0)
	v_max_f32_e32 v5, v5, v5
	v_max_f32_e32 v0, v0, v5
	v_xor_b32_e32 v5, 8, v1
	v_cmp_lt_i32_e32 vcc, v5, v4
	s_nop 1
	v_cndmask_b32_e32 v5, v1, v5, vcc
	v_lshlrev_b32_e32 v36, 2, v5
	ds_bpermute_b32 v5, v36, v0
	s_waitcnt lgkmcnt(0)
	v_max_f32_e32 v5, v5, v5
	v_max_f32_e32 v0, v0, v5
	v_xor_b32_e32 v5, 4, v1
	v_cmp_lt_i32_e32 vcc, v5, v4
	s_nop 1
	v_cndmask_b32_e32 v5, v1, v5, vcc
	v_lshlrev_b32_e32 v37, 2, v5
	ds_bpermute_b32 v5, v37, v0
	s_waitcnt lgkmcnt(0)
	v_max_f32_e32 v5, v5, v5
	v_max_f32_e32 v0, v0, v5
	v_xor_b32_e32 v5, 2, v1
	v_cmp_lt_i32_e32 vcc, v5, v4
	s_nop 1
	v_cndmask_b32_e32 v5, v1, v5, vcc
	v_lshlrev_b32_e32 v38, 2, v5
	ds_bpermute_b32 v5, v38, v0
	s_waitcnt lgkmcnt(0)
	v_max_f32_e32 v5, v5, v5
	v_max_f32_e32 v0, v0, v5
	v_xor_b32_e32 v5, 1, v1
	v_cmp_lt_i32_e32 vcc, v5, v4
	s_nop 1
	v_cndmask_b32_e32 v1, v1, v5, vcc
	v_lshlrev_b32_e32 v39, 2, v1
	ds_bpermute_b32 v1, v39, v0
	s_waitcnt lgkmcnt(0)
	v_max_f32_e32 v1, v1, v1
	v_max_f32_e32 v8, v0, v1
	v_sub_f32_e32 v0, v33, v8
	v_mul_f32_e32 v1, 0x3fb8aa3b, v0
	v_fma_f32 v4, v0, s1, -v1
	v_rndne_f32_e32 v5, v1
	v_fmac_f32_e32 v4, 0x32a5705f, v0
	v_sub_f32_e32 v1, v1, v5
	v_add_f32_e32 v1, v1, v4
	v_exp_f32_e32 v1, v1
	v_cvt_i32_f32_e32 v4, v5
	v_cmp_ngt_f32_e32 vcc, s0, v0
	v_ldexp_f32 v1, v1, v4
	v_sub_f32_e32 v4, v32, v8
	v_mul_f32_e32 v5, 0x3fb8aa3b, v4
	v_fma_f32 v6, v4, s1, -v5
	v_rndne_f32_e32 v7, v5
	v_fmac_f32_e32 v6, 0x32a5705f, v4
	v_sub_f32_e32 v5, v5, v7
	v_add_f32_e32 v5, v5, v6
	v_exp_f32_e32 v5, v5
	v_cvt_i32_f32_e32 v6, v7
	v_cndmask_b32_e32 v1, 0, v1, vcc
	v_cmp_nlt_f32_e32 vcc, s5, v0
	s_nop 1
	v_cndmask_b32_e32 v0, v9, v1, vcc
	v_ldexp_f32 v1, v5, v6
	v_sub_f32_e32 v5, v31, v8
	v_mul_f32_e32 v6, 0x3fb8aa3b, v5
	v_fma_f32 v7, v5, s1, -v6
	v_rndne_f32_e32 v10, v6
	v_fmac_f32_e32 v7, 0x32a5705f, v5
	v_sub_f32_e32 v6, v6, v10
	v_add_f32_e32 v6, v6, v7
	v_exp_f32_e32 v6, v6
	v_cvt_i32_f32_e32 v7, v10
	v_cmp_ngt_f32_e32 vcc, s0, v4
	s_nop 1
	v_cndmask_b32_e32 v1, 0, v1, vcc
	v_cmp_nlt_f32_e32 vcc, s5, v4
	v_ldexp_f32 v4, v6, v7
	v_sub_f32_e32 v6, v30, v8
	v_mul_f32_e32 v7, 0x3fb8aa3b, v6
	v_fma_f32 v11, v6, s1, -v7
	v_rndne_f32_e32 v12, v7
	v_fmac_f32_e32 v11, 0x32a5705f, v6
	v_sub_f32_e32 v7, v7, v12
	v_add_f32_e32 v7, v7, v11
	v_exp_f32_e32 v7, v7
	v_cvt_i32_f32_e32 v11, v12
	v_cndmask_b32_e32 v1, v9, v1, vcc
	v_cmp_ngt_f32_e32 vcc, s0, v5
	v_add_f32_e32 v10, v0, v1
	s_nop 0
	v_cndmask_b32_e32 v4, 0, v4, vcc
	v_cmp_nlt_f32_e32 vcc, s5, v5
	v_ldexp_f32 v5, v7, v11
	v_sub_f32_e32 v7, v29, v8
	v_mul_f32_e32 v11, 0x3fb8aa3b, v7
	v_fma_f32 v12, v7, s1, -v11
	v_rndne_f32_e32 v13, v11
	v_fmac_f32_e32 v12, 0x32a5705f, v7
	v_sub_f32_e32 v11, v11, v13
	v_add_f32_e32 v11, v11, v12
	v_exp_f32_e32 v11, v11
	v_cvt_i32_f32_e32 v12, v13
	v_cndmask_b32_e32 v4, v9, v4, vcc
	v_cmp_ngt_f32_e32 vcc, s0, v6
	v_add_f32_e32 v10, v4, v10
	;; [unrolled: 16-line block ×4, first 2 shown]
	s_nop 0
	v_cndmask_b32_e32 v7, 0, v7, vcc
	v_cmp_nlt_f32_e32 vcc, s5, v11
	s_nop 1
	v_cndmask_b32_e32 v7, v9, v7, vcc
	v_add_f32_e32 v11, v7, v10
	v_ldexp_f32 v10, v13, v14
	v_sub_f32_e32 v13, v26, v8
	v_mul_f32_e32 v14, 0x3fb8aa3b, v13
	v_fma_f32 v15, v13, s1, -v14
	v_rndne_f32_e32 v16, v14
	v_fmac_f32_e32 v15, 0x32a5705f, v13
	v_sub_f32_e32 v14, v14, v16
	v_add_f32_e32 v14, v14, v15
	v_exp_f32_e32 v14, v14
	v_cvt_i32_f32_e32 v15, v16
	v_cmp_ngt_f32_e32 vcc, s0, v12
	s_nop 1
	v_cndmask_b32_e32 v10, 0, v10, vcc
	v_cmp_nlt_f32_e32 vcc, s5, v12
	s_nop 1
	v_cndmask_b32_e32 v10, v9, v10, vcc
	v_add_f32_e32 v12, v10, v11
	v_ldexp_f32 v11, v14, v15
	v_sub_f32_e32 v14, v25, v8
	v_mul_f32_e32 v15, 0x3fb8aa3b, v14
	v_fma_f32 v16, v14, s1, -v15
	v_rndne_f32_e32 v17, v15
	v_fmac_f32_e32 v16, 0x32a5705f, v14
	v_sub_f32_e32 v15, v15, v17
	v_add_f32_e32 v15, v15, v16
	v_exp_f32_e32 v15, v15
	v_cvt_i32_f32_e32 v16, v17
	v_cmp_ngt_f32_e32 vcc, s0, v13
	s_nop 1
	v_cndmask_b32_e32 v11, 0, v11, vcc
	v_cmp_nlt_f32_e32 vcc, s5, v13
	v_ldexp_f32 v13, v15, v16
	v_sub_f32_e32 v15, v24, v8
	v_mul_f32_e32 v16, 0x3fb8aa3b, v15
	v_fma_f32 v17, v15, s1, -v16
	v_rndne_f32_e32 v40, v16
	v_fmac_f32_e32 v17, 0x32a5705f, v15
	v_sub_f32_e32 v16, v16, v40
	v_add_f32_e32 v16, v16, v17
	v_exp_f32_e32 v16, v16
	v_cvt_i32_f32_e32 v17, v40
	v_cndmask_b32_e32 v11, v9, v11, vcc
	v_cmp_ngt_f32_e32 vcc, s0, v14
	v_add_f32_e32 v12, v11, v12
	s_nop 0
	v_cndmask_b32_e32 v13, 0, v13, vcc
	v_cmp_nlt_f32_e32 vcc, s5, v14
	s_nop 1
	v_cndmask_b32_e32 v14, v9, v13, vcc
	v_ldexp_f32 v13, v16, v17
	v_sub_f32_e32 v16, v23, v8
	v_mul_f32_e32 v17, 0x3fb8aa3b, v16
	v_fma_f32 v40, v16, s1, -v17
	v_rndne_f32_e32 v41, v17
	v_fmac_f32_e32 v40, 0x32a5705f, v16
	v_sub_f32_e32 v17, v17, v41
	v_add_f32_e32 v17, v17, v40
	v_exp_f32_e32 v17, v17
	v_cvt_i32_f32_e32 v40, v41
	v_cmp_ngt_f32_e32 vcc, s0, v15
	v_add_f32_e32 v12, v14, v12
	s_nop 0
	v_cndmask_b32_e32 v13, 0, v13, vcc
	v_cmp_nlt_f32_e32 vcc, s5, v15
	s_nop 1
	v_cndmask_b32_e32 v15, v9, v13, vcc
	v_ldexp_f32 v13, v17, v40
	v_sub_f32_e32 v17, v22, v8
	v_mul_f32_e32 v40, 0x3fb8aa3b, v17
	v_fma_f32 v41, v17, s1, -v40
	v_rndne_f32_e32 v42, v40
	v_fmac_f32_e32 v41, 0x32a5705f, v17
	v_sub_f32_e32 v40, v40, v42
	v_add_f32_e32 v40, v40, v41
	v_exp_f32_e32 v40, v40
	v_cvt_i32_f32_e32 v41, v42
	;; [unrolled: 17-line block ×3, first 2 shown]
	v_cmp_ngt_f32_e32 vcc, s0, v17
	v_add_f32_e32 v12, v16, v12
	s_nop 0
	v_cndmask_b32_e32 v13, 0, v13, vcc
	v_cmp_nlt_f32_e32 vcc, s5, v17
	s_nop 1
	v_cndmask_b32_e32 v17, v9, v13, vcc
	v_add_f32_e32 v13, v17, v12
	v_ldexp_f32 v12, v41, v42
	v_sub_f32_e32 v41, v20, v8
	v_mul_f32_e32 v42, 0x3fb8aa3b, v41
	v_fma_f32 v43, v41, s1, -v42
	v_rndne_f32_e32 v44, v42
	v_fmac_f32_e32 v43, 0x32a5705f, v41
	v_sub_f32_e32 v42, v42, v44
	v_add_f32_e32 v42, v42, v43
	v_exp_f32_e32 v42, v42
	v_cvt_i32_f32_e32 v43, v44
	v_cmp_ngt_f32_e32 vcc, s0, v40
	s_nop 1
	v_cndmask_b32_e32 v12, 0, v12, vcc
	v_cmp_nlt_f32_e32 vcc, s5, v40
	s_nop 1
	v_cndmask_b32_e32 v12, v9, v12, vcc
	v_add_f32_e32 v40, v12, v13
	v_ldexp_f32 v13, v42, v43
	v_sub_f32_e32 v42, v19, v8
	v_mul_f32_e32 v43, 0x3fb8aa3b, v42
	v_fma_f32 v44, v42, s1, -v43
	v_rndne_f32_e32 v45, v43
	v_fmac_f32_e32 v44, 0x32a5705f, v42
	v_sub_f32_e32 v43, v43, v45
	v_add_f32_e32 v43, v43, v44
	v_exp_f32_e32 v43, v43
	v_cvt_i32_f32_e32 v44, v45
	v_cmp_ngt_f32_e32 vcc, s0, v41
	s_nop 1
	v_cndmask_b32_e32 v13, 0, v13, vcc
	v_cmp_nlt_f32_e32 vcc, s5, v41
	v_ldexp_f32 v41, v43, v44
	v_sub_f32_e32 v43, v18, v8
	v_mul_f32_e32 v8, 0x3fb8aa3b, v43
	v_fma_f32 v44, v43, s1, -v8
	v_rndne_f32_e32 v45, v8
	v_fmac_f32_e32 v44, 0x32a5705f, v43
	v_sub_f32_e32 v8, v8, v45
	v_add_f32_e32 v8, v8, v44
	v_exp_f32_e32 v44, v8
	v_cvt_i32_f32_e32 v45, v45
	v_cndmask_b32_e32 v13, v9, v13, vcc
	v_cmp_ngt_f32_e32 vcc, s0, v42
	v_add_f32_e32 v40, v13, v40
	s_nop 0
	v_cndmask_b32_e32 v41, 0, v41, vcc
	v_cmp_nlt_f32_e32 vcc, s5, v42
	s_nop 1
	v_cndmask_b32_e32 v8, v9, v41, vcc
	v_ldexp_f32 v41, v44, v45
	v_cmp_ngt_f32_e32 vcc, s0, v43
	v_add_f32_e32 v40, v8, v40
	s_nop 0
	v_cndmask_b32_e32 v41, 0, v41, vcc
	v_cmp_nlt_f32_e32 vcc, s5, v43
	s_nop 1
	v_cndmask_b32_e32 v9, v9, v41, vcc
	v_add_f32_e32 v40, v9, v40
	ds_bpermute_b32 v35, v35, v40
	s_waitcnt lgkmcnt(0)
	v_add_f32_e32 v35, v40, v35
	ds_bpermute_b32 v36, v36, v35
	s_waitcnt lgkmcnt(0)
	;; [unrolled: 3-line block ×5, first 2 shown]
	v_add_f32_e32 v35, v35, v36
	v_div_scale_f32 v36, s[0:1], v35, v35, 1.0
	v_rcp_f32_e32 v37, v36
	s_nop 0
	v_fma_f32 v38, -v36, v37, 1.0
	v_fmac_f32_e32 v37, v38, v37
	v_div_scale_f32 v38, vcc, 1.0, v35, 1.0
	v_mul_f32_e32 v39, v38, v37
	v_fma_f32 v40, -v36, v39, v38
	v_fmac_f32_e32 v39, v40, v37
	v_fma_f32 v36, -v36, v39, v38
	v_div_fmas_f32 v36, v36, v37, v39
	v_div_fixup_f32 v36, v36, v35, 1.0
	v_pk_mul_f32 v[8:9], v[8:9], v[36:37] op_sel_hi:[1,0]
	v_pk_mul_f32 v[12:13], v[12:13], v[36:37] op_sel_hi:[1,0]
	;; [unrolled: 1-line block ×8, first 2 shown]
	s_cbranch_execz .LBB9_5
	s_branch .LBB9_6
.LBB9_4:
                                        ; implicit-def: $vgpr9
                                        ; implicit-def: $vgpr13
                                        ; implicit-def: $vgpr17
                                        ; implicit-def: $vgpr15
                                        ; implicit-def: $vgpr11
                                        ; implicit-def: $vgpr7
                                        ; implicit-def: $vgpr5
                                        ; implicit-def: $vgpr1
.LBB9_5:
	v_mul_f32_e32 v0, 0xbfb8aa3b, v33
	s_mov_b32 s0, 0xbfb8aa3b
	v_rndne_f32_e32 v1, v0
	v_sub_f32_e32 v4, v0, v1
	v_fma_f32 v0, v33, s0, -v0
	v_fmac_f32_e32 v0, 0xb2a5705f, v33
	v_add_f32_e32 v0, v4, v0
	v_exp_f32_e32 v0, v0
	v_cvt_i32_f32_e32 v1, v1
	s_mov_b32 s1, 0x42ce8ed0
	v_cmp_nlt_f32_e32 vcc, s1, v33
	s_mov_b32 s5, 0xc2b17218
	v_ldexp_f32 v0, v0, v1
	v_mul_f32_e32 v1, 0xbfb8aa3b, v32
	v_rndne_f32_e32 v4, v1
	v_sub_f32_e32 v5, v1, v4
	v_fma_f32 v1, v32, s0, -v1
	v_fmac_f32_e32 v1, 0xb2a5705f, v32
	v_add_f32_e32 v1, v5, v1
	v_exp_f32_e32 v1, v1
	v_cvt_i32_f32_e32 v4, v4
	v_cndmask_b32_e32 v0, 0, v0, vcc
	v_mov_b32_e32 v9, 0x7f800000
	v_cmp_ngt_f32_e32 vcc, s5, v33
	v_ldexp_f32 v1, v1, v4
	v_mul_f32_e32 v4, 0xbfb8aa3b, v31
	v_rndne_f32_e32 v5, v4
	v_sub_f32_e32 v6, v4, v5
	v_fma_f32 v4, v31, s0, -v4
	v_fmac_f32_e32 v4, 0xb2a5705f, v31
	v_add_f32_e32 v4, v6, v4
	v_exp_f32_e32 v4, v4
	v_cvt_i32_f32_e32 v5, v5
	v_cndmask_b32_e32 v0, v9, v0, vcc
	v_cmp_nlt_f32_e32 vcc, s1, v32
	v_ldexp_f32 v4, v4, v5
	v_mul_f32_e32 v5, 0xbfb8aa3b, v30
	v_rndne_f32_e32 v6, v5
	v_sub_f32_e32 v7, v5, v6
	v_fma_f32 v5, v30, s0, -v5
	v_fmac_f32_e32 v5, 0xb2a5705f, v30
	v_add_f32_e32 v5, v7, v5
	v_exp_f32_e32 v5, v5
	v_cvt_i32_f32_e32 v6, v6
	v_cndmask_b32_e32 v1, 0, v1, vcc
	v_cmp_ngt_f32_e32 vcc, s5, v32
	v_ldexp_f32 v5, v5, v6
	v_mul_f32_e32 v6, 0xbfb8aa3b, v29
	v_rndne_f32_e32 v7, v6
	v_sub_f32_e32 v8, v6, v7
	v_fma_f32 v6, v29, s0, -v6
	v_fmac_f32_e32 v6, 0xb2a5705f, v29
	v_add_f32_e32 v6, v8, v6
	v_exp_f32_e32 v6, v6
	v_cvt_i32_f32_e32 v7, v7
	v_cndmask_b32_e32 v1, v9, v1, vcc
	v_cmp_nlt_f32_e32 vcc, s1, v31
	v_pk_add_f32 v[0:1], v[0:1], 1.0 op_sel_hi:[1,0]
	v_ldexp_f32 v6, v6, v7
	v_mul_f32_e32 v7, 0xbfb8aa3b, v28
	v_rndne_f32_e32 v8, v7
	v_sub_f32_e32 v10, v7, v8
	v_fma_f32 v7, v28, s0, -v7
	v_fmac_f32_e32 v7, 0xb2a5705f, v28
	v_add_f32_e32 v7, v10, v7
	v_exp_f32_e32 v7, v7
	v_cvt_i32_f32_e32 v8, v8
	v_cndmask_b32_e32 v4, 0, v4, vcc
	v_cmp_ngt_f32_e32 vcc, s5, v31
	v_ldexp_f32 v7, v7, v8
	v_mul_f32_e32 v8, 0xbfb8aa3b, v27
	v_rndne_f32_e32 v10, v8
	v_sub_f32_e32 v11, v8, v10
	v_fma_f32 v8, v27, s0, -v8
	v_fmac_f32_e32 v8, 0xb2a5705f, v27
	v_add_f32_e32 v8, v11, v8
	v_exp_f32_e32 v8, v8
	v_cvt_i32_f32_e32 v10, v10
	v_cndmask_b32_e32 v4, v9, v4, vcc
	v_cmp_nlt_f32_e32 vcc, s1, v30
	v_ldexp_f32 v8, v8, v10
	v_mul_f32_e32 v10, 0xbfb8aa3b, v26
	v_rndne_f32_e32 v11, v10
	v_cndmask_b32_e32 v5, 0, v5, vcc
	v_cmp_ngt_f32_e32 vcc, s5, v30
	v_sub_f32_e32 v12, v10, v11
	v_fma_f32 v10, v26, s0, -v10
	v_cndmask_b32_e32 v5, v9, v5, vcc
	v_cmp_nlt_f32_e32 vcc, s1, v29
	v_fmac_f32_e32 v10, 0xb2a5705f, v26
	v_add_f32_e32 v10, v12, v10
	v_cndmask_b32_e32 v6, 0, v6, vcc
	v_cmp_ngt_f32_e32 vcc, s5, v29
	v_exp_f32_e32 v12, v10
	v_cvt_i32_f32_e32 v11, v11
	v_cndmask_b32_e32 v6, v9, v6, vcc
	v_cmp_nlt_f32_e32 vcc, s1, v28
	v_pk_add_f32 v[4:5], v[4:5], 1.0 op_sel_hi:[1,0]
	s_nop 0
	v_cndmask_b32_e32 v7, 0, v7, vcc
	v_cmp_ngt_f32_e32 vcc, s5, v28
	s_nop 1
	v_cndmask_b32_e32 v7, v9, v7, vcc
	v_cmp_nlt_f32_e32 vcc, s1, v27
	v_pk_add_f32 v[6:7], v[6:7], 1.0 op_sel_hi:[1,0]
	s_nop 0
	v_cndmask_b32_e32 v8, 0, v8, vcc
	v_cmp_ngt_f32_e32 vcc, s5, v27
	s_nop 1
	v_cndmask_b32_e32 v10, v9, v8, vcc
	v_ldexp_f32 v8, v12, v11
	v_mul_f32_e32 v11, 0xbfb8aa3b, v25
	v_rndne_f32_e32 v12, v11
	v_sub_f32_e32 v13, v11, v12
	v_fma_f32 v11, v25, s0, -v11
	v_fmac_f32_e32 v11, 0xb2a5705f, v25
	v_add_f32_e32 v11, v13, v11
	v_exp_f32_e32 v13, v11
	v_cvt_i32_f32_e32 v12, v12
	v_cmp_nlt_f32_e32 vcc, s1, v26
	s_nop 1
	v_cndmask_b32_e32 v8, 0, v8, vcc
	v_cmp_ngt_f32_e32 vcc, s5, v26
	s_nop 1
	v_cndmask_b32_e32 v11, v9, v8, vcc
	v_ldexp_f32 v8, v13, v12
	v_mul_f32_e32 v12, 0xbfb8aa3b, v24
	v_rndne_f32_e32 v13, v12
	v_sub_f32_e32 v14, v12, v13
	v_fma_f32 v12, v24, s0, -v12
	v_fmac_f32_e32 v12, 0xb2a5705f, v24
	v_add_f32_e32 v12, v14, v12
	v_exp_f32_e32 v12, v12
	v_cvt_i32_f32_e32 v13, v13
	v_cmp_nlt_f32_e32 vcc, s1, v25
	v_pk_add_f32 v[10:11], v[10:11], 1.0 op_sel_hi:[1,0]
	s_nop 0
	v_cndmask_b32_e32 v8, 0, v8, vcc
	v_cmp_ngt_f32_e32 vcc, s5, v25
	s_nop 1
	v_cndmask_b32_e32 v14, v9, v8, vcc
	v_ldexp_f32 v8, v12, v13
	v_mul_f32_e32 v12, 0xbfb8aa3b, v23
	v_rndne_f32_e32 v13, v12
	v_sub_f32_e32 v15, v12, v13
	v_fma_f32 v12, v23, s0, -v12
	v_fmac_f32_e32 v12, 0xb2a5705f, v23
	v_add_f32_e32 v12, v15, v12
	v_exp_f32_e32 v12, v12
	v_cvt_i32_f32_e32 v13, v13
	v_cmp_nlt_f32_e32 vcc, s1, v24
	s_nop 1
	v_cndmask_b32_e32 v8, 0, v8, vcc
	v_cmp_ngt_f32_e32 vcc, s5, v24
	s_nop 1
	v_cndmask_b32_e32 v15, v9, v8, vcc
	v_ldexp_f32 v8, v12, v13
	v_mul_f32_e32 v12, 0xbfb8aa3b, v22
	v_rndne_f32_e32 v13, v12
	v_sub_f32_e32 v16, v12, v13
	v_fma_f32 v12, v22, s0, -v12
	v_fmac_f32_e32 v12, 0xb2a5705f, v22
	v_add_f32_e32 v12, v16, v12
	v_exp_f32_e32 v12, v12
	v_cvt_i32_f32_e32 v13, v13
	;; [unrolled: 31-line block ×3, first 2 shown]
	v_cmp_nlt_f32_e32 vcc, s1, v21
	v_pk_add_f32 v[16:17], v[16:17], 1.0 op_sel_hi:[1,0]
	s_nop 0
	v_cndmask_b32_e32 v8, 0, v8, vcc
	v_cmp_ngt_f32_e32 vcc, s5, v21
	s_nop 1
	v_cndmask_b32_e32 v12, v9, v8, vcc
	v_ldexp_f32 v8, v22, v13
	v_mul_f32_e32 v13, 0xbfb8aa3b, v19
	v_rndne_f32_e32 v21, v13
	v_sub_f32_e32 v22, v13, v21
	v_fma_f32 v13, v19, s0, -v13
	v_fmac_f32_e32 v13, 0xb2a5705f, v19
	v_add_f32_e32 v13, v22, v13
	v_exp_f32_e32 v22, v13
	v_cvt_i32_f32_e32 v21, v21
	v_cmp_nlt_f32_e32 vcc, s1, v20
	s_nop 1
	v_cndmask_b32_e32 v8, 0, v8, vcc
	v_cmp_ngt_f32_e32 vcc, s5, v20
	v_mul_f32_e32 v20, 0xbfb8aa3b, v18
	s_nop 0
	v_cndmask_b32_e32 v13, v9, v8, vcc
	v_ldexp_f32 v8, v22, v21
	v_rndne_f32_e32 v21, v20
	v_sub_f32_e32 v22, v20, v21
	v_fma_f32 v20, v18, s0, -v20
	v_fmac_f32_e32 v20, 0xb2a5705f, v18
	v_add_f32_e32 v20, v22, v20
	v_exp_f32_e32 v20, v20
	v_cvt_i32_f32_e32 v21, v21
	v_cmp_nlt_f32_e32 vcc, s1, v19
	v_pk_add_f32 v[12:13], v[12:13], 1.0 op_sel_hi:[1,0]
	s_nop 0
	v_cndmask_b32_e32 v8, 0, v8, vcc
	v_cmp_ngt_f32_e32 vcc, s5, v19
	v_ldexp_f32 v19, v20, v21
	s_nop 0
	v_cndmask_b32_e32 v8, v9, v8, vcc
	v_cmp_nlt_f32_e32 vcc, s1, v18
	s_nop 1
	v_cndmask_b32_e32 v19, 0, v19, vcc
	v_cmp_ngt_f32_e32 vcc, s5, v18
	v_div_scale_f32 v18, s[0:1], v0, v0, 1.0
	s_nop 0
	v_cndmask_b32_e32 v9, v9, v19, vcc
	v_rcp_f32_e32 v19, v18
	v_pk_add_f32 v[8:9], v[8:9], 1.0 op_sel_hi:[1,0]
	v_fma_f32 v20, -v18, v19, 1.0
	v_fmac_f32_e32 v19, v20, v19
	v_div_scale_f32 v20, vcc, 1.0, v0, 1.0
	v_mul_f32_e32 v21, v20, v19
	v_fma_f32 v22, -v18, v21, v20
	v_fmac_f32_e32 v21, v22, v19
	v_fma_f32 v18, -v18, v21, v20
	v_div_scale_f32 v20, s[0:1], v1, v1, 1.0
	v_rcp_f32_e32 v22, v20
	v_div_fmas_f32 v18, v18, v19, v21
	v_div_fixup_f32 v0, v18, v0, 1.0
	v_fma_f32 v18, -v20, v22, 1.0
	v_fmac_f32_e32 v22, v18, v22
	v_div_scale_f32 v18, vcc, 1.0, v1, 1.0
	v_mul_f32_e32 v19, v18, v22
	v_fma_f32 v21, -v20, v19, v18
	v_fmac_f32_e32 v19, v21, v22
	v_fma_f32 v18, -v20, v19, v18
	v_div_scale_f32 v20, s[0:1], v4, v4, 1.0
	v_rcp_f32_e32 v21, v20
	v_div_fmas_f32 v18, v18, v22, v19
	v_div_fixup_f32 v1, v18, v1, 1.0
	;; [unrolled: 11-line block ×15, first 2 shown]
	v_fma_f32 v18, -v20, v22, 1.0
	v_fmac_f32_e32 v22, v18, v22
	v_div_scale_f32 v18, vcc, 1.0, v9, 1.0
	v_mul_f32_e32 v19, v18, v22
	v_fma_f32 v21, -v20, v19, v18
	v_fmac_f32_e32 v19, v21, v22
	v_fma_f32 v18, -v20, v19, v18
	v_div_fmas_f32 v18, v18, v22, v19
	v_div_fixup_f32 v9, v18, v9, 1.0
.LBB9_6:
	v_mov_b32_e32 v33, v0
	v_mov_b32_e32 v32, v1
	;; [unrolled: 1-line block ×16, first 2 shown]
.LBB9_7:
	s_lshr_b32 s6, s4, 8
	s_cmp_gt_i32 s45, 0
	s_cbranch_scc1 .LBB9_9
; %bb.8:
	s_bitcmp1_b32 s6, 0
	s_mov_b64 s[0:1], 0
	s_cselect_b64 s[4:5], -1, 0
	s_branch .LBB9_10
.LBB9_9:
	s_mov_b64 s[0:1], -1
                                        ; implicit-def: $sgpr4_sgpr5
.LBB9_10:
	v_add_u32_e32 v86, 32, v71
	v_add_u32_e32 v85, 64, v71
	;; [unrolled: 1-line block ×15, first 2 shown]
	s_mov_b32 s10, 0
	s_andn2_b64 vcc, exec, s[0:1]
	v_mbcnt_lo_u32_b32 v35, -1, 0
	s_cbranch_vccnz .LBB9_37
; %bb.11:
	global_load_dword v0, v34, s[42:43] offset:1024
	global_load_dword v1, v34, s[42:43] offset:1152
	;; [unrolled: 1-line block ×14, first 2 shown]
	global_load_dword v68, v34, s[42:43]
	global_load_dword v69, v34, s[42:43] offset:128
	v_mov_b32_e32 v51, 0xff7fffff
	v_cmp_o_f32_e32 vcc, v33, v33
	v_mov_b32_e32 v16, s40
	v_mov_b32_e32 v17, s41
	v_cndmask_b32_e32 v36, v51, v33, vcc
	v_cmp_o_f32_e32 vcc, v32, v32
	v_mbcnt_hi_u32_b32 v90, -1, v35
	v_lshl_add_u64 v[52:53], v[2:3], 2, v[16:17]
	v_cndmask_b32_e32 v37, v51, v32, vcc
	v_cmp_o_f32_e32 vcc, v31, v31
	v_and_b32_e32 v2, 0x60, v90
	v_xor_b32_e32 v3, 16, v90
	v_cndmask_b32_e32 v38, v51, v31, vcc
	v_cmp_o_f32_e32 vcc, v30, v30
	v_add_u32_e32 v2, 32, v2
	v_xor_b32_e32 v16, 8, v90
	v_cndmask_b32_e32 v39, v51, v30, vcc
	v_cmp_o_f32_e32 vcc, v29, v29
	v_xor_b32_e32 v17, 4, v90
	s_bitcmp1_b32 s6, 0
	v_cndmask_b32_e32 v40, v51, v29, vcc
	v_cmp_o_f32_e32 vcc, v28, v28
	s_cselect_b64 s[4:5], -1, 0
	v_mov_b32_e32 v91, 0xff800000
	v_cndmask_b32_e32 v41, v51, v28, vcc
	v_cmp_o_f32_e32 vcc, v27, v27
	s_waitcnt vmcnt(6)
	v_pk_add_f32 v[66:67], v[38:39], v[10:11]
	v_cndmask_b32_e32 v42, v51, v27, vcc
	v_cmp_o_f32_e32 vcc, v26, v26
	s_waitcnt vmcnt(2)
	v_pk_add_f32 v[64:65], v[40:41], v[12:13]
	v_cndmask_b32_e32 v43, v51, v26, vcc
	v_cmp_o_f32_e32 vcc, v25, v25
	v_pk_add_f32 v[62:63], v[42:43], v[14:15]
	s_waitcnt vmcnt(0)
	v_pk_add_f32 v[68:69], v[36:37], v[68:69]
	v_cndmask_b32_e32 v44, v51, v25, vcc
	v_cmp_o_f32_e32 vcc, v24, v24
	s_nop 1
	v_cndmask_b32_e32 v45, v51, v24, vcc
	v_cmp_o_f32_e32 vcc, v23, v23
	v_pk_add_f32 v[60:61], v[44:45], v[0:1]
	v_xor_b32_e32 v0, 1, v90
	v_cndmask_b32_e32 v46, v51, v23, vcc
	v_cmp_o_f32_e32 vcc, v22, v22
	s_nop 1
	v_cndmask_b32_e32 v47, v51, v22, vcc
	v_cmp_o_f32_e32 vcc, v21, v21
	v_pk_add_f32 v[58:59], v[46:47], v[4:5]
	s_nop 0
	v_cndmask_b32_e32 v48, v51, v21, vcc
	v_cmp_o_f32_e32 vcc, v20, v20
	s_nop 1
	v_cndmask_b32_e32 v49, v51, v20, vcc
	v_cmp_o_f32_e32 vcc, v19, v19
	v_pk_add_f32 v[56:57], v[48:49], v[6:7]
	s_nop 0
	v_cndmask_b32_e32 v50, v51, v19, vcc
	v_cmp_o_f32_e32 vcc, v18, v18
	s_nop 1
	v_cndmask_b32_e32 v51, v51, v18, vcc
	v_cmp_lt_i32_e32 vcc, v3, v2
	v_xor_b32_e32 v18, 2, v90
	v_pk_add_f32 v[54:55], v[50:51], v[8:9]
	v_cndmask_b32_e32 v3, v90, v3, vcc
	v_cmp_lt_i32_e32 vcc, v16, v2
	s_nop 1
	v_cndmask_b32_e32 v16, v90, v16, vcc
	v_cmp_lt_i32_e32 vcc, v17, v2
	v_lshlrev_b32_e32 v87, 2, v16
	v_mov_b32_e32 v16, 0
	v_cndmask_b32_e32 v19, v90, v17, vcc
	v_cmp_lt_i32_e32 vcc, v18, v2
	v_lshlrev_b32_e32 v17, 2, v3
	v_lshlrev_b32_e32 v88, 2, v19
	v_cndmask_b32_e32 v18, v90, v18, vcc
	v_cmp_lt_i32_e32 vcc, v0, v2
	v_lshlrev_b32_e32 v89, 2, v18
	v_mov_b32_e32 v1, v16
	v_cndmask_b32_e32 v0, v90, v0, vcc
	v_lshlrev_b32_e32 v90, 2, v0
	v_mov_b32_e32 v0, 0
	v_mov_b32_e32 v2, v16
	;; [unrolled: 1-line block ×15, first 2 shown]
	s_branch .LBB9_13
.LBB9_12:                               ;   in Loop: Header=BB9_13 Depth=1
	s_or_b64 exec, exec, s[0:1]
	s_and_b32 s0, s10, 31
	s_waitcnt lgkmcnt(0)
	v_mov_b64_e32 v[32:33], v[14:15]
	s_lshr_b32 s1, s10, 5
	v_mov_b64_e32 v[30:31], v[12:13]
	v_mov_b64_e32 v[28:29], v[10:11]
	;; [unrolled: 1-line block ×7, first 2 shown]
	v_cmp_eq_u32_e32 vcc, s0, v71
	s_add_i32 s10, s10, 1
	s_set_gpr_idx_on s1, gpr_idx(DST)
	v_mov_b32_e32 v18, v92
	s_set_gpr_idx_off
	v_cndmask_b32_e32 v15, v15, v33, vcc
	v_cndmask_b32_e32 v14, v14, v32, vcc
	v_cndmask_b32_e32 v13, v13, v31, vcc
	v_cndmask_b32_e32 v12, v12, v30, vcc
	v_cndmask_b32_e32 v11, v11, v29, vcc
	v_cndmask_b32_e32 v10, v10, v28, vcc
	v_cndmask_b32_e32 v9, v9, v27, vcc
	v_cndmask_b32_e32 v8, v8, v26, vcc
	v_cndmask_b32_e32 v7, v7, v25, vcc
	v_cndmask_b32_e32 v6, v6, v24, vcc
	v_cndmask_b32_e32 v5, v5, v23, vcc
	v_cndmask_b32_e32 v4, v4, v22, vcc
	v_cndmask_b32_e32 v3, v3, v21, vcc
	v_cndmask_b32_e32 v2, v2, v20, vcc
	v_cndmask_b32_e32 v1, v1, v19, vcc
	v_cndmask_b32_e32 v0, v0, v18, vcc
	s_cmp_eq_u32 s45, s10
	v_lshl_add_u64 v[52:53], v[52:53], 0, 4
	s_cbranch_scc1 .LBB9_38
.LBB9_13:                               ; =>This Inner Loop Header: Depth=1
	v_cmp_gt_f32_e32 vcc, v69, v68
	s_nop 1
	v_cndmask_b32_e32 v20, v68, v69, vcc
	v_cndmask_b32_e32 v18, v36, v37, vcc
	v_cndmask_b32_e32 v19, v71, v86, vcc
	v_cmp_gt_f32_e32 vcc, v66, v20
	s_nop 1
	v_cndmask_b32_e32 v20, v20, v66, vcc
	v_cndmask_b32_e32 v18, v18, v38, vcc
	v_cndmask_b32_e32 v19, v19, v85, vcc
	;; [unrolled: 5-line block ×15, first 2 shown]
	ds_bpermute_b32 v22, v17, v19
	ds_bpermute_b32 v21, v17, v92
	;; [unrolled: 1-line block ×3, first 2 shown]
	s_waitcnt lgkmcnt(2)
	v_cmp_lt_f32_e64 s[6:7], v19, v22
	v_cmp_nlt_f32_e32 vcc, v19, v22
	s_and_saveexec_b64 s[8:9], vcc
	s_cbranch_execz .LBB9_15
; %bb.14:                               ;   in Loop: Header=BB9_13 Depth=1
	v_cmp_eq_f32_e32 vcc, v19, v22
	s_waitcnt lgkmcnt(0)
	v_cmp_lt_i32_e64 s[0:1], v20, v18
	s_and_b64 s[0:1], vcc, s[0:1]
	s_andn2_b64 s[6:7], s[6:7], exec
	s_and_b64 s[0:1], s[0:1], exec
	s_or_b64 s[6:7], s[6:7], s[0:1]
.LBB9_15:                               ;   in Loop: Header=BB9_13 Depth=1
	s_or_b64 exec, exec, s[8:9]
	s_and_saveexec_b64 s[0:1], s[6:7]
	s_cbranch_execz .LBB9_17
; %bb.16:                               ;   in Loop: Header=BB9_13 Depth=1
	v_mov_b32_e32 v19, v22
	s_waitcnt lgkmcnt(1)
	v_mov_b32_e32 v92, v21
	s_waitcnt lgkmcnt(0)
	v_mov_b32_e32 v18, v20
.LBB9_17:                               ;   in Loop: Header=BB9_13 Depth=1
	s_or_b64 exec, exec, s[0:1]
	ds_bpermute_b32 v22, v87, v19
	s_waitcnt lgkmcnt(2)
	ds_bpermute_b32 v21, v87, v92
	s_waitcnt lgkmcnt(2)
	ds_bpermute_b32 v20, v87, v18
	s_waitcnt lgkmcnt(2)
	v_cmp_lt_f32_e64 s[6:7], v19, v22
	v_cmp_nlt_f32_e32 vcc, v19, v22
	s_and_saveexec_b64 s[8:9], vcc
	s_cbranch_execz .LBB9_19
; %bb.18:                               ;   in Loop: Header=BB9_13 Depth=1
	v_cmp_eq_f32_e32 vcc, v19, v22
	s_waitcnt lgkmcnt(0)
	v_cmp_lt_i32_e64 s[0:1], v20, v18
	s_and_b64 s[0:1], vcc, s[0:1]
	s_andn2_b64 s[6:7], s[6:7], exec
	s_and_b64 s[0:1], s[0:1], exec
	s_or_b64 s[6:7], s[6:7], s[0:1]
.LBB9_19:                               ;   in Loop: Header=BB9_13 Depth=1
	s_or_b64 exec, exec, s[8:9]
	s_and_saveexec_b64 s[0:1], s[6:7]
	s_cbranch_execz .LBB9_21
; %bb.20:                               ;   in Loop: Header=BB9_13 Depth=1
	v_mov_b32_e32 v19, v22
	s_waitcnt lgkmcnt(1)
	v_mov_b32_e32 v92, v21
	s_waitcnt lgkmcnt(0)
	v_mov_b32_e32 v18, v20
.LBB9_21:                               ;   in Loop: Header=BB9_13 Depth=1
	s_or_b64 exec, exec, s[0:1]
	ds_bpermute_b32 v22, v88, v19
	s_waitcnt lgkmcnt(2)
	ds_bpermute_b32 v21, v88, v92
	s_waitcnt lgkmcnt(2)
	ds_bpermute_b32 v20, v88, v18
	;; [unrolled: 30-line block ×4, first 2 shown]
	s_waitcnt lgkmcnt(2)
	v_cmp_lt_f32_e64 s[6:7], v19, v22
	v_cmp_nlt_f32_e32 vcc, v19, v22
	s_and_saveexec_b64 s[8:9], vcc
	s_cbranch_execz .LBB9_31
; %bb.30:                               ;   in Loop: Header=BB9_13 Depth=1
	v_cmp_eq_f32_e32 vcc, v19, v22
	s_waitcnt lgkmcnt(0)
	v_cmp_lt_i32_e64 s[0:1], v20, v18
	s_and_b64 s[0:1], vcc, s[0:1]
	s_andn2_b64 s[6:7], s[6:7], exec
	s_and_b64 s[0:1], s[0:1], exec
	s_or_b64 s[6:7], s[6:7], s[0:1]
.LBB9_31:                               ;   in Loop: Header=BB9_13 Depth=1
	s_or_b64 exec, exec, s[8:9]
	s_and_saveexec_b64 s[0:1], s[6:7]
	s_cbranch_execz .LBB9_33
; %bb.32:                               ;   in Loop: Header=BB9_13 Depth=1
	s_waitcnt lgkmcnt(1)
	v_mov_b32_e32 v92, v21
	s_waitcnt lgkmcnt(0)
	v_mov_b32_e32 v18, v20
.LBB9_33:                               ;   in Loop: Header=BB9_13 Depth=1
	s_or_b64 exec, exec, s[0:1]
	v_and_b32_e32 v19, 31, v18
	v_cmp_eq_u32_e32 vcc, v19, v71
	s_and_saveexec_b64 s[6:7], vcc
	s_cbranch_execz .LBB9_35
; %bb.34:                               ;   in Loop: Header=BB9_13 Depth=1
	v_ashrrev_i32_e32 v19, 31, v18
	v_lshrrev_b32_e32 v19, 27, v19
	v_add_u32_e32 v19, v18, v19
	v_ashrrev_i32_e32 v19, 5, v19
	v_cmp_ne_u32_e64 s[0:1], 15, v19
	s_nop 1
	v_cndmask_b32_e64 v55, v91, v55, s[0:1]
	v_cmp_ne_u32_e64 s[0:1], 14, v19
	s_nop 1
	v_cndmask_b32_e64 v54, v91, v54, s[0:1]
	v_cmp_ne_u32_e64 s[0:1], 13, v19
	s_nop 1
	v_cndmask_b32_e64 v57, v91, v57, s[0:1]
	v_cmp_ne_u32_e64 s[0:1], 12, v19
	s_nop 1
	v_cndmask_b32_e64 v56, v91, v56, s[0:1]
	v_cmp_ne_u32_e64 s[0:1], 11, v19
	s_nop 1
	v_cndmask_b32_e64 v59, v91, v59, s[0:1]
	v_cmp_ne_u32_e64 s[0:1], 10, v19
	s_nop 1
	v_cndmask_b32_e64 v58, v91, v58, s[0:1]
	v_cmp_ne_u32_e64 s[0:1], 9, v19
	s_nop 1
	v_cndmask_b32_e64 v61, v91, v61, s[0:1]
	v_cmp_ne_u32_e64 s[0:1], 8, v19
	s_nop 1
	v_cndmask_b32_e64 v60, v91, v60, s[0:1]
	v_cmp_ne_u32_e64 s[0:1], 7, v19
	s_nop 1
	v_cndmask_b32_e64 v63, v91, v63, s[0:1]
	v_cmp_ne_u32_e64 s[0:1], 6, v19
	s_nop 1
	v_cndmask_b32_e64 v62, v91, v62, s[0:1]
	v_cmp_ne_u32_e64 s[0:1], 5, v19
	s_nop 1
	v_cndmask_b32_e64 v65, v91, v65, s[0:1]
	v_cmp_ne_u32_e64 s[0:1], 4, v19
	s_nop 1
	v_cndmask_b32_e64 v64, v91, v64, s[0:1]
	v_cmp_ne_u32_e64 s[0:1], 3, v19
	s_nop 1
	v_cndmask_b32_e64 v67, v91, v67, s[0:1]
	v_cmp_ne_u32_e64 s[0:1], 2, v19
	s_nop 1
	v_cndmask_b32_e64 v66, v91, v66, s[0:1]
	v_cmp_ne_u32_e64 s[0:1], 1, v19
	s_nop 1
	v_cndmask_b32_e64 v69, v91, v69, s[0:1]
	v_cmp_ne_u32_e64 s[0:1], 0, v19
	s_nop 1
	v_cndmask_b32_e64 v68, v91, v68, s[0:1]
.LBB9_35:                               ;   in Loop: Header=BB9_13 Depth=1
	s_or_b64 exec, exec, s[6:7]
	s_and_saveexec_b64 s[0:1], vcc
	s_cbranch_execz .LBB9_12
; %bb.36:                               ;   in Loop: Header=BB9_13 Depth=1
	v_add_f32_e32 v19, v16, v92
	v_cndmask_b32_e64 v16, v16, v19, s[4:5]
	global_store_dword v[52:53], v18, off
	s_branch .LBB9_12
.LBB9_37:
	v_mov_b32_e32 v16, 0
	v_mov_b32_e32 v17, v16
	;; [unrolled: 1-line block ×16, first 2 shown]
	v_mov_b64_e32 v[0:1], v[16:17]
	v_mov_b64_e32 v[2:3], v[18:19]
	;; [unrolled: 1-line block ×8, first 2 shown]
.LBB9_38:
	s_and_b64 vcc, exec, s[4:5]
	s_cbranch_vccz .LBB9_40
; %bb.39:
	v_mbcnt_hi_u32_b32 v17, -1, v35
	v_and_b32_e32 v18, 0x60, v17
	v_add_u32_e32 v18, 32, v18
	v_xor_b32_e32 v19, 16, v17
	v_cmp_lt_i32_e32 vcc, v19, v18
	v_xor_b32_e32 v20, 8, v17
	s_nop 0
	v_cndmask_b32_e32 v19, v17, v19, vcc
	v_lshlrev_b32_e32 v19, 2, v19
	ds_bpermute_b32 v19, v19, v16
	v_cmp_lt_i32_e32 vcc, v20, v18
	s_waitcnt lgkmcnt(0)
	v_add_f32_e32 v16, v16, v19
	v_cndmask_b32_e32 v19, v17, v20, vcc
	v_lshlrev_b32_e32 v19, 2, v19
	ds_bpermute_b32 v19, v19, v16
	v_xor_b32_e32 v20, 4, v17
	v_cmp_lt_i32_e32 vcc, v20, v18
	s_waitcnt lgkmcnt(0)
	v_add_f32_e32 v16, v16, v19
	v_cndmask_b32_e32 v19, v17, v20, vcc
	v_lshlrev_b32_e32 v19, 2, v19
	ds_bpermute_b32 v19, v19, v16
	v_xor_b32_e32 v20, 2, v17
	;; [unrolled: 7-line block ×3, first 2 shown]
	v_cmp_lt_i32_e32 vcc, v20, v18
	v_max_f32_e64 v18, s46, s46
	s_waitcnt lgkmcnt(0)
	v_add_f32_e32 v16, v16, v19
	v_cndmask_b32_e32 v17, v17, v20, vcc
	v_lshlrev_b32_e32 v17, 2, v17
	ds_bpermute_b32 v17, v17, v16
	s_waitcnt lgkmcnt(0)
	v_add_f32_e32 v16, v16, v17
	v_max_f32_e32 v16, v16, v18
	v_div_scale_f32 v17, s[0:1], v16, v16, 1.0
	v_rcp_f32_e32 v18, v17
	v_div_scale_f32 v19, vcc, 1.0, v16, 1.0
	v_fma_f32 v20, -v17, v18, 1.0
	v_fmac_f32_e32 v18, v20, v18
	v_mul_f32_e32 v20, v19, v18
	v_fma_f32 v21, -v17, v20, v19
	v_fmac_f32_e32 v20, v21, v18
	v_fma_f32 v17, -v17, v20, v19
	v_div_fmas_f32 v17, v17, v18, v20
	v_div_fixup_f32 v16, v17, v16, 1.0
	v_pk_mul_f32 v[14:15], v[16:17], v[14:15] op_sel_hi:[0,1]
	v_pk_mul_f32 v[12:13], v[16:17], v[12:13] op_sel_hi:[0,1]
	;; [unrolled: 1-line block ×8, first 2 shown]
.LBB9_40:
	s_andn2_b64 vcc, exec, s[2:3]
	v_cmp_gt_i32_e64 s[28:29], s45, v86
	v_cmp_gt_i32_e64 s[26:27], s45, v85
	;; [unrolled: 1-line block ×16, first 2 shown]
	s_cbranch_vccnz .LBB9_42
; %bb.41:
	v_max_f32_e32 v16, v0, v0
	v_max_f32_e32 v16, 0xff800000, v16
	v_mov_b32_e32 v17, 0xff800000
	v_cndmask_b32_e64 v16, v17, v16, s[30:31]
	v_max_f32_e32 v17, v1, v1
	v_max_f32_e32 v17, v16, v17
	v_cndmask_b32_e64 v16, v16, v17, s[28:29]
	v_max_f32_e32 v17, v2, v2
	v_max_f32_e32 v17, v16, v17
	;; [unrolled: 3-line block ×5, first 2 shown]
	v_max_f32_e32 v17, v17, v18
	v_cndmask_b32_e64 v16, v16, v17, s[20:21]
	v_max_f32_e32 v17, v16, v16
	v_max_f32_e32 v18, v6, v6
	v_max_f32_e32 v17, v17, v18
	v_cndmask_b32_e64 v16, v16, v17, s[18:19]
	v_max_f32_e32 v17, v16, v16
	v_max_f32_e32 v18, v7, v7
	;; [unrolled: 4-line block ×10, first 2 shown]
	v_max_f32_e32 v17, v17, v18
	v_cndmask_b32_e64 v16, v16, v17, s[0:1]
	v_mbcnt_hi_u32_b32 v17, -1, v35
	v_and_b32_e32 v18, 0x60, v17
	v_add_u32_e32 v18, 32, v18
	v_xor_b32_e32 v19, 16, v17
	v_cmp_lt_i32_e32 vcc, v19, v18
	s_mov_b32 s35, 0x3fb8aa3b
	s_mov_b32 s33, 0xc2ce8ed0
	v_cndmask_b32_e32 v19, v17, v19, vcc
	v_lshlrev_b32_e32 v19, 2, v19
	ds_bpermute_b32 v20, v19, v16
	v_max_f32_e32 v16, v16, v16
	s_mov_b32 s34, 0x42b17218
	s_waitcnt lgkmcnt(0)
	v_max_f32_e32 v20, v20, v20
	v_max_f32_e32 v16, v16, v20
	v_xor_b32_e32 v20, 8, v17
	v_cmp_lt_i32_e32 vcc, v20, v18
	s_nop 1
	v_cndmask_b32_e32 v20, v17, v20, vcc
	v_lshlrev_b32_e32 v20, 2, v20
	ds_bpermute_b32 v21, v20, v16
	s_waitcnt lgkmcnt(0)
	v_max_f32_e32 v21, v21, v21
	v_max_f32_e32 v16, v16, v21
	v_xor_b32_e32 v21, 4, v17
	v_cmp_lt_i32_e32 vcc, v21, v18
	s_nop 1
	v_cndmask_b32_e32 v21, v17, v21, vcc
	v_lshlrev_b32_e32 v21, 2, v21
	ds_bpermute_b32 v22, v21, v16
	;; [unrolled: 9-line block ×4, first 2 shown]
	s_waitcnt lgkmcnt(0)
	v_max_f32_e32 v18, v18, v18
	v_max_f32_e32 v16, v16, v18
	v_sub_f32_e32 v0, v0, v16
	v_mul_f32_e32 v18, 0x3fb8aa3b, v0
	v_fma_f32 v23, v0, s35, -v18
	v_rndne_f32_e32 v24, v18
	v_fmac_f32_e32 v23, 0x32a5705f, v0
	v_sub_f32_e32 v18, v18, v24
	v_sub_f32_e32 v1, v1, v16
	v_add_f32_e32 v18, v18, v23
	v_cvt_i32_f32_e32 v23, v24
	v_mul_f32_e32 v24, 0x3fb8aa3b, v1
	v_fma_f32 v25, v1, s35, -v24
	v_rndne_f32_e32 v26, v24
	v_exp_f32_e32 v18, v18
	v_fmac_f32_e32 v25, 0x32a5705f, v1
	v_sub_f32_e32 v24, v24, v26
	v_add_f32_e32 v24, v24, v25
	v_exp_f32_e32 v24, v24
	v_cvt_i32_f32_e32 v25, v26
	v_ldexp_f32 v18, v18, v23
	v_cmp_ngt_f32_e32 vcc, s33, v0
	v_mov_b32_e32 v23, 0x7f800000
	v_sub_f32_e32 v2, v2, v16
	v_cndmask_b32_e32 v18, 0, v18, vcc
	v_cmp_nlt_f32_e32 vcc, s34, v0
	v_sub_f32_e32 v3, v3, v16
	v_sub_f32_e32 v4, v4, v16
	v_cndmask_b32_e32 v0, v23, v18, vcc
	v_ldexp_f32 v18, v24, v25
	v_mul_f32_e32 v24, 0x3fb8aa3b, v2
	v_fma_f32 v25, v2, s35, -v24
	v_rndne_f32_e32 v26, v24
	v_fmac_f32_e32 v25, 0x32a5705f, v2
	v_sub_f32_e32 v24, v24, v26
	v_add_f32_e32 v24, v24, v25
	v_exp_f32_e32 v24, v24
	v_cvt_i32_f32_e32 v25, v26
	v_cmp_ngt_f32_e32 vcc, s33, v1
	v_cndmask_b32_e64 v0, 0, v0, s[30:31]
	v_sub_f32_e32 v5, v5, v16
	v_ldexp_f32 v24, v24, v25
	v_mul_f32_e32 v25, 0x3fb8aa3b, v3
	v_fma_f32 v26, v3, s35, -v25
	v_rndne_f32_e32 v27, v25
	v_fmac_f32_e32 v26, 0x32a5705f, v3
	v_sub_f32_e32 v25, v25, v27
	v_cndmask_b32_e32 v18, 0, v18, vcc
	v_cmp_nlt_f32_e32 vcc, s34, v1
	v_add_f32_e32 v25, v25, v26
	v_exp_f32_e32 v25, v25
	v_cndmask_b32_e32 v1, v23, v18, vcc
	v_cmp_ngt_f32_e32 vcc, s33, v2
	v_cvt_i32_f32_e32 v26, v27
	v_add_f32_e32 v18, v1, v0
	v_cndmask_b32_e32 v24, 0, v24, vcc
	v_cmp_nlt_f32_e32 vcc, s34, v2
	v_cndmask_b32_e64 v18, v0, v18, s[28:29]
	v_sub_f32_e32 v6, v6, v16
	v_cndmask_b32_e32 v2, v23, v24, vcc
	v_add_f32_e32 v24, v18, v2
	v_cndmask_b32_e64 v18, v18, v24, s[26:27]
	v_ldexp_f32 v24, v25, v26
	v_mul_f32_e32 v25, 0x3fb8aa3b, v4
	v_fma_f32 v26, v4, s35, -v25
	v_rndne_f32_e32 v27, v25
	v_fmac_f32_e32 v26, 0x32a5705f, v4
	v_sub_f32_e32 v25, v25, v27
	v_add_f32_e32 v25, v25, v26
	v_cmp_ngt_f32_e32 vcc, s33, v3
	v_exp_f32_e32 v25, v25
	v_cvt_i32_f32_e32 v26, v27
	v_cndmask_b32_e32 v24, 0, v24, vcc
	v_cmp_nlt_f32_e32 vcc, s34, v3
	v_sub_f32_e32 v7, v7, v16
	v_sub_f32_e32 v8, v8, v16
	v_cndmask_b32_e32 v3, v23, v24, vcc
	v_add_f32_e32 v24, v18, v3
	v_cndmask_b32_e64 v18, v18, v24, s[24:25]
	v_ldexp_f32 v24, v25, v26
	v_mul_f32_e32 v25, 0x3fb8aa3b, v5
	v_fma_f32 v26, v5, s35, -v25
	v_rndne_f32_e32 v27, v25
	v_fmac_f32_e32 v26, 0x32a5705f, v5
	v_sub_f32_e32 v25, v25, v27
	v_add_f32_e32 v25, v25, v26
	v_cmp_ngt_f32_e32 vcc, s33, v4
	v_exp_f32_e32 v25, v25
	v_cvt_i32_f32_e32 v26, v27
	v_cndmask_b32_e32 v24, 0, v24, vcc
	v_cmp_nlt_f32_e32 vcc, s34, v4
	v_sub_f32_e32 v9, v9, v16
	;; [unrolled: 17-line block ×5, first 2 shown]
	v_mul_f32_e32 v16, 0x3fb8aa3b, v15
	v_cndmask_b32_e32 v7, v23, v24, vcc
	v_add_f32_e32 v24, v18, v7
	v_cndmask_b32_e64 v18, v18, v24, s[16:17]
	v_ldexp_f32 v24, v25, v26
	v_mul_f32_e32 v25, 0x3fb8aa3b, v9
	v_fma_f32 v26, v9, s35, -v25
	v_rndne_f32_e32 v27, v25
	v_fmac_f32_e32 v26, 0x32a5705f, v9
	v_sub_f32_e32 v25, v25, v27
	v_add_f32_e32 v25, v25, v26
	v_cmp_ngt_f32_e32 vcc, s33, v8
	v_exp_f32_e32 v25, v25
	v_cvt_i32_f32_e32 v26, v27
	v_cndmask_b32_e32 v24, 0, v24, vcc
	v_cmp_nlt_f32_e32 vcc, s34, v8
	v_cndmask_b32_e64 v1, 0, v1, s[28:29]
	v_cndmask_b32_e64 v2, 0, v2, s[26:27]
	v_cndmask_b32_e32 v8, v23, v24, vcc
	v_add_f32_e32 v24, v18, v8
	v_cndmask_b32_e64 v18, v18, v24, s[14:15]
	v_ldexp_f32 v24, v25, v26
	v_mul_f32_e32 v25, 0x3fb8aa3b, v10
	v_fma_f32 v26, v10, s35, -v25
	v_rndne_f32_e32 v27, v25
	v_fmac_f32_e32 v26, 0x32a5705f, v10
	v_sub_f32_e32 v25, v25, v27
	v_add_f32_e32 v25, v25, v26
	v_cmp_ngt_f32_e32 vcc, s33, v9
	v_exp_f32_e32 v25, v25
	v_cvt_i32_f32_e32 v26, v27
	v_cndmask_b32_e32 v24, 0, v24, vcc
	v_cmp_nlt_f32_e32 vcc, s34, v9
	v_cndmask_b32_e64 v3, 0, v3, s[24:25]
	v_cndmask_b32_e64 v4, 0, v4, s[22:23]
	;; [unrolled: 17-line block ×6, first 2 shown]
	v_cndmask_b32_e32 v13, v23, v24, vcc
	v_add_f32_e32 v24, v18, v13
	v_cndmask_b32_e64 v18, v18, v24, s[4:5]
	v_ldexp_f32 v24, v25, v26
	v_fma_f32 v25, v15, s35, -v16
	v_rndne_f32_e32 v26, v16
	v_fmac_f32_e32 v25, 0x32a5705f, v15
	v_sub_f32_e32 v16, v16, v26
	v_add_f32_e32 v16, v16, v25
	v_exp_f32_e32 v16, v16
	v_cvt_i32_f32_e32 v25, v26
	v_cmp_ngt_f32_e32 vcc, s33, v14
	v_cndmask_b32_e64 v13, 0, v13, s[4:5]
	v_ldexp_f32 v16, v16, v25
	v_cndmask_b32_e32 v24, 0, v24, vcc
	v_cmp_nlt_f32_e32 vcc, s34, v14
	s_nop 1
	v_cndmask_b32_e32 v14, v23, v24, vcc
	v_cmp_ngt_f32_e32 vcc, s33, v15
	v_add_f32_e32 v24, v18, v14
	v_cndmask_b32_e64 v18, v18, v24, s[2:3]
	v_cndmask_b32_e32 v16, 0, v16, vcc
	v_cmp_nlt_f32_e32 vcc, s34, v15
	v_cndmask_b32_e64 v14, 0, v14, s[2:3]
	s_nop 0
	v_cndmask_b32_e32 v15, v23, v16, vcc
	v_add_f32_e32 v16, v18, v15
	v_cndmask_b32_e64 v16, v18, v16, s[0:1]
	ds_bpermute_b32 v18, v19, v16
	v_cndmask_b32_e64 v15, 0, v15, s[0:1]
	s_waitcnt lgkmcnt(0)
	v_add_f32_e32 v16, v16, v18
	ds_bpermute_b32 v18, v20, v16
	s_waitcnt lgkmcnt(0)
	v_add_f32_e32 v16, v16, v18
	ds_bpermute_b32 v18, v21, v16
	;; [unrolled: 3-line block ×4, first 2 shown]
	s_waitcnt lgkmcnt(0)
	v_add_f32_e32 v16, v16, v17
	v_div_scale_f32 v17, s[34:35], v16, v16, 1.0
	v_rcp_f32_e32 v18, v17
	s_nop 0
	v_fma_f32 v19, -v17, v18, 1.0
	v_fmac_f32_e32 v18, v19, v18
	v_div_scale_f32 v19, vcc, 1.0, v16, 1.0
	v_mul_f32_e32 v20, v19, v18
	v_fma_f32 v21, -v17, v20, v19
	v_fmac_f32_e32 v20, v21, v18
	v_fma_f32 v17, -v17, v20, v19
	v_div_fmas_f32 v17, v17, v18, v20
	v_div_fixup_f32 v16, v17, v16, 1.0
	v_mul_f32_e32 v17, v0, v16
	v_cndmask_b32_e64 v0, v0, v17, s[30:31]
	v_mul_f32_e32 v17, v1, v16
	v_cndmask_b32_e64 v1, v1, v17, s[28:29]
	;; [unrolled: 2-line block ×14, first 2 shown]
	v_mul_f32_e32 v17, v14, v16
	v_mul_f32_e32 v16, v15, v16
	v_cndmask_b32_e64 v14, v14, v17, s[2:3]
	v_cndmask_b32_e64 v15, v15, v16, s[0:1]
.LBB9_42:
	v_mul_lo_u32 v18, v70, s45
	v_mov_b32_e32 v16, s38
	v_mov_b32_e32 v17, s39
	v_ashrrev_i32_e32 v19, 31, v18
	v_lshl_add_u64 v[16:17], v[18:19], 2, v[16:17]
	v_cmp_gt_i32_e32 vcc, s45, v71
	s_and_saveexec_b64 s[0:1], vcc
	s_cbranch_execnz .LBB9_60
; %bb.43:
	s_or_b64 exec, exec, s[0:1]
	v_cmp_gt_i32_e32 vcc, s45, v86
	s_and_saveexec_b64 s[0:1], vcc
	s_cbranch_execnz .LBB9_61
.LBB9_44:
	s_or_b64 exec, exec, s[0:1]
	v_cmp_gt_i32_e32 vcc, s45, v85
	s_and_saveexec_b64 s[0:1], vcc
	s_cbranch_execnz .LBB9_62
.LBB9_45:
	s_or_b64 exec, exec, s[0:1]
	v_cmp_gt_i32_e32 vcc, s45, v84
	s_and_saveexec_b64 s[0:1], vcc
	s_cbranch_execnz .LBB9_63
.LBB9_46:
	s_or_b64 exec, exec, s[0:1]
	v_cmp_gt_i32_e32 vcc, s45, v83
	s_and_saveexec_b64 s[0:1], vcc
	s_cbranch_execnz .LBB9_64
.LBB9_47:
	s_or_b64 exec, exec, s[0:1]
	v_cmp_gt_i32_e32 vcc, s45, v82
	s_and_saveexec_b64 s[0:1], vcc
	s_cbranch_execnz .LBB9_65
.LBB9_48:
	s_or_b64 exec, exec, s[0:1]
	v_cmp_gt_i32_e32 vcc, s45, v81
	s_and_saveexec_b64 s[0:1], vcc
	s_cbranch_execnz .LBB9_66
.LBB9_49:
	s_or_b64 exec, exec, s[0:1]
	v_cmp_gt_i32_e32 vcc, s45, v80
	s_and_saveexec_b64 s[0:1], vcc
	s_cbranch_execnz .LBB9_67
.LBB9_50:
	s_or_b64 exec, exec, s[0:1]
	v_cmp_gt_i32_e32 vcc, s45, v79
	s_and_saveexec_b64 s[0:1], vcc
	s_cbranch_execnz .LBB9_68
.LBB9_51:
	s_or_b64 exec, exec, s[0:1]
	v_cmp_gt_i32_e32 vcc, s45, v78
	s_and_saveexec_b64 s[0:1], vcc
	s_cbranch_execnz .LBB9_69
.LBB9_52:
	s_or_b64 exec, exec, s[0:1]
	v_cmp_gt_i32_e32 vcc, s45, v77
	s_and_saveexec_b64 s[0:1], vcc
	s_cbranch_execnz .LBB9_70
.LBB9_53:
	s_or_b64 exec, exec, s[0:1]
	v_cmp_gt_i32_e32 vcc, s45, v76
	s_and_saveexec_b64 s[0:1], vcc
	s_cbranch_execnz .LBB9_71
.LBB9_54:
	s_or_b64 exec, exec, s[0:1]
	v_cmp_gt_i32_e32 vcc, s45, v75
	s_and_saveexec_b64 s[0:1], vcc
	s_cbranch_execnz .LBB9_72
.LBB9_55:
	s_or_b64 exec, exec, s[0:1]
	v_cmp_gt_i32_e32 vcc, s45, v74
	s_and_saveexec_b64 s[0:1], vcc
	s_cbranch_execnz .LBB9_73
.LBB9_56:
	s_or_b64 exec, exec, s[0:1]
	v_cmp_gt_i32_e32 vcc, s45, v73
	s_and_saveexec_b64 s[0:1], vcc
	s_cbranch_execnz .LBB9_74
.LBB9_57:
	s_or_b64 exec, exec, s[0:1]
	v_cmp_gt_i32_e32 vcc, s45, v72
	s_and_b64 exec, exec, vcc
	s_cbranch_execz .LBB9_59
.LBB9_58:
	v_mov_b32_e32 v35, 0
	v_lshl_add_u64 v[0:1], v[16:17], 0, v[34:35]
	v_mul_f32_e32 v2, s47, v15
	global_store_dword v[0:1], v2, off offset:1920
.LBB9_59:
	s_endpgm
.LBB9_60:
	v_mov_b32_e32 v35, 0
	v_lshl_add_u64 v[18:19], v[16:17], 0, v[34:35]
	v_mul_f32_e32 v0, s47, v0
	global_store_dword v[18:19], v0, off
	s_or_b64 exec, exec, s[0:1]
	v_cmp_gt_i32_e32 vcc, s45, v86
	s_and_saveexec_b64 s[0:1], vcc
	s_cbranch_execz .LBB9_44
.LBB9_61:
	v_mov_b32_e32 v35, 0
	v_lshl_add_u64 v[18:19], v[16:17], 0, v[34:35]
	v_mul_f32_e32 v0, s47, v1
	global_store_dword v[18:19], v0, off offset:128
	s_or_b64 exec, exec, s[0:1]
	v_cmp_gt_i32_e32 vcc, s45, v85
	s_and_saveexec_b64 s[0:1], vcc
	s_cbranch_execz .LBB9_45
.LBB9_62:
	v_mov_b32_e32 v35, 0
	v_lshl_add_u64 v[0:1], v[16:17], 0, v[34:35]
	v_mul_f32_e32 v2, s47, v2
	global_store_dword v[0:1], v2, off offset:256
	s_or_b64 exec, exec, s[0:1]
	v_cmp_gt_i32_e32 vcc, s45, v84
	s_and_saveexec_b64 s[0:1], vcc
	s_cbranch_execz .LBB9_46
.LBB9_63:
	v_mov_b32_e32 v35, 0
	v_lshl_add_u64 v[0:1], v[16:17], 0, v[34:35]
	v_mul_f32_e32 v2, s47, v3
	global_store_dword v[0:1], v2, off offset:384
	s_or_b64 exec, exec, s[0:1]
	v_cmp_gt_i32_e32 vcc, s45, v83
	s_and_saveexec_b64 s[0:1], vcc
	s_cbranch_execz .LBB9_47
.LBB9_64:
	v_mov_b32_e32 v35, 0
	v_lshl_add_u64 v[0:1], v[16:17], 0, v[34:35]
	v_mul_f32_e32 v2, s47, v4
	global_store_dword v[0:1], v2, off offset:512
	s_or_b64 exec, exec, s[0:1]
	v_cmp_gt_i32_e32 vcc, s45, v82
	s_and_saveexec_b64 s[0:1], vcc
	s_cbranch_execz .LBB9_48
.LBB9_65:
	v_mov_b32_e32 v35, 0
	v_lshl_add_u64 v[0:1], v[16:17], 0, v[34:35]
	v_mul_f32_e32 v2, s47, v5
	global_store_dword v[0:1], v2, off offset:640
	s_or_b64 exec, exec, s[0:1]
	v_cmp_gt_i32_e32 vcc, s45, v81
	s_and_saveexec_b64 s[0:1], vcc
	s_cbranch_execz .LBB9_49
.LBB9_66:
	v_mov_b32_e32 v35, 0
	v_lshl_add_u64 v[0:1], v[16:17], 0, v[34:35]
	v_mul_f32_e32 v2, s47, v6
	global_store_dword v[0:1], v2, off offset:768
	s_or_b64 exec, exec, s[0:1]
	v_cmp_gt_i32_e32 vcc, s45, v80
	s_and_saveexec_b64 s[0:1], vcc
	s_cbranch_execz .LBB9_50
.LBB9_67:
	v_mov_b32_e32 v35, 0
	v_lshl_add_u64 v[0:1], v[16:17], 0, v[34:35]
	v_mul_f32_e32 v2, s47, v7
	global_store_dword v[0:1], v2, off offset:896
	s_or_b64 exec, exec, s[0:1]
	v_cmp_gt_i32_e32 vcc, s45, v79
	s_and_saveexec_b64 s[0:1], vcc
	s_cbranch_execz .LBB9_51
.LBB9_68:
	v_mov_b32_e32 v35, 0
	v_lshl_add_u64 v[0:1], v[16:17], 0, v[34:35]
	v_mul_f32_e32 v2, s47, v8
	global_store_dword v[0:1], v2, off offset:1024
	s_or_b64 exec, exec, s[0:1]
	v_cmp_gt_i32_e32 vcc, s45, v78
	s_and_saveexec_b64 s[0:1], vcc
	s_cbranch_execz .LBB9_52
.LBB9_69:
	v_mov_b32_e32 v35, 0
	v_lshl_add_u64 v[0:1], v[16:17], 0, v[34:35]
	v_mul_f32_e32 v2, s47, v9
	global_store_dword v[0:1], v2, off offset:1152
	s_or_b64 exec, exec, s[0:1]
	v_cmp_gt_i32_e32 vcc, s45, v77
	s_and_saveexec_b64 s[0:1], vcc
	s_cbranch_execz .LBB9_53
.LBB9_70:
	v_mov_b32_e32 v35, 0
	v_lshl_add_u64 v[0:1], v[16:17], 0, v[34:35]
	v_mul_f32_e32 v2, s47, v10
	global_store_dword v[0:1], v2, off offset:1280
	s_or_b64 exec, exec, s[0:1]
	v_cmp_gt_i32_e32 vcc, s45, v76
	s_and_saveexec_b64 s[0:1], vcc
	s_cbranch_execz .LBB9_54
.LBB9_71:
	v_mov_b32_e32 v35, 0
	v_lshl_add_u64 v[0:1], v[16:17], 0, v[34:35]
	v_mul_f32_e32 v2, s47, v11
	global_store_dword v[0:1], v2, off offset:1408
	s_or_b64 exec, exec, s[0:1]
	v_cmp_gt_i32_e32 vcc, s45, v75
	s_and_saveexec_b64 s[0:1], vcc
	s_cbranch_execz .LBB9_55
.LBB9_72:
	v_mov_b32_e32 v35, 0
	v_lshl_add_u64 v[0:1], v[16:17], 0, v[34:35]
	v_mul_f32_e32 v2, s47, v12
	global_store_dword v[0:1], v2, off offset:1536
	s_or_b64 exec, exec, s[0:1]
	v_cmp_gt_i32_e32 vcc, s45, v74
	s_and_saveexec_b64 s[0:1], vcc
	s_cbranch_execz .LBB9_56
.LBB9_73:
	v_mov_b32_e32 v35, 0
	v_lshl_add_u64 v[0:1], v[16:17], 0, v[34:35]
	v_mul_f32_e32 v2, s47, v13
	global_store_dword v[0:1], v2, off offset:1664
	s_or_b64 exec, exec, s[0:1]
	v_cmp_gt_i32_e32 vcc, s45, v73
	s_and_saveexec_b64 s[0:1], vcc
	s_cbranch_execz .LBB9_57
.LBB9_74:
	v_mov_b32_e32 v35, 0
	v_lshl_add_u64 v[0:1], v[16:17], 0, v[34:35]
	v_mul_f32_e32 v2, s47, v14
	global_store_dword v[0:1], v2, off offset:1792
	s_or_b64 exec, exec, s[0:1]
	v_cmp_gt_i32_e32 vcc, s45, v72
	s_and_b64 exec, exec, vcc
	s_cbranch_execnz .LBB9_58
	s_branch .LBB9_59
	.section	.rodata,"a",@progbits
	.p2align	6, 0x0
	.amdhsa_kernel _Z13topk_moe_cudaILi512ELb1EEvPKfPfPiS2_iiff15topk_moe_config
		.amdhsa_group_segment_fixed_size 0
		.amdhsa_private_segment_fixed_size 0
		.amdhsa_kernarg_size 312
		.amdhsa_user_sgpr_count 2
		.amdhsa_user_sgpr_dispatch_ptr 0
		.amdhsa_user_sgpr_queue_ptr 0
		.amdhsa_user_sgpr_kernarg_segment_ptr 1
		.amdhsa_user_sgpr_dispatch_id 0
		.amdhsa_user_sgpr_kernarg_preload_length 0
		.amdhsa_user_sgpr_kernarg_preload_offset 0
		.amdhsa_user_sgpr_private_segment_size 0
		.amdhsa_uses_dynamic_stack 0
		.amdhsa_enable_private_segment 0
		.amdhsa_system_sgpr_workgroup_id_x 1
		.amdhsa_system_sgpr_workgroup_id_y 0
		.amdhsa_system_sgpr_workgroup_id_z 0
		.amdhsa_system_sgpr_workgroup_info 0
		.amdhsa_system_vgpr_workitem_id 1
		.amdhsa_next_free_vgpr 93
		.amdhsa_next_free_sgpr 48
		.amdhsa_accum_offset 96
		.amdhsa_reserve_vcc 1
		.amdhsa_float_round_mode_32 0
		.amdhsa_float_round_mode_16_64 0
		.amdhsa_float_denorm_mode_32 3
		.amdhsa_float_denorm_mode_16_64 3
		.amdhsa_dx10_clamp 1
		.amdhsa_ieee_mode 1
		.amdhsa_fp16_overflow 0
		.amdhsa_tg_split 0
		.amdhsa_exception_fp_ieee_invalid_op 0
		.amdhsa_exception_fp_denorm_src 0
		.amdhsa_exception_fp_ieee_div_zero 0
		.amdhsa_exception_fp_ieee_overflow 0
		.amdhsa_exception_fp_ieee_underflow 0
		.amdhsa_exception_fp_ieee_inexact 0
		.amdhsa_exception_int_div_zero 0
	.end_amdhsa_kernel
	.section	.text._Z13topk_moe_cudaILi512ELb1EEvPKfPfPiS2_iiff15topk_moe_config,"axG",@progbits,_Z13topk_moe_cudaILi512ELb1EEvPKfPfPiS2_iiff15topk_moe_config,comdat
.Lfunc_end9:
	.size	_Z13topk_moe_cudaILi512ELb1EEvPKfPfPiS2_iiff15topk_moe_config, .Lfunc_end9-_Z13topk_moe_cudaILi512ELb1EEvPKfPfPiS2_iiff15topk_moe_config
                                        ; -- End function
	.set _Z13topk_moe_cudaILi512ELb1EEvPKfPfPiS2_iiff15topk_moe_config.num_vgpr, 93
	.set _Z13topk_moe_cudaILi512ELb1EEvPKfPfPiS2_iiff15topk_moe_config.num_agpr, 0
	.set _Z13topk_moe_cudaILi512ELb1EEvPKfPfPiS2_iiff15topk_moe_config.numbered_sgpr, 48
	.set _Z13topk_moe_cudaILi512ELb1EEvPKfPfPiS2_iiff15topk_moe_config.num_named_barrier, 0
	.set _Z13topk_moe_cudaILi512ELb1EEvPKfPfPiS2_iiff15topk_moe_config.private_seg_size, 0
	.set _Z13topk_moe_cudaILi512ELb1EEvPKfPfPiS2_iiff15topk_moe_config.uses_vcc, 1
	.set _Z13topk_moe_cudaILi512ELb1EEvPKfPfPiS2_iiff15topk_moe_config.uses_flat_scratch, 0
	.set _Z13topk_moe_cudaILi512ELb1EEvPKfPfPiS2_iiff15topk_moe_config.has_dyn_sized_stack, 0
	.set _Z13topk_moe_cudaILi512ELb1EEvPKfPfPiS2_iiff15topk_moe_config.has_recursion, 0
	.set _Z13topk_moe_cudaILi512ELb1EEvPKfPfPiS2_iiff15topk_moe_config.has_indirect_call, 0
	.section	.AMDGPU.csdata,"",@progbits
; Kernel info:
; codeLenInByte = 10704
; TotalNumSgprs: 54
; NumVgprs: 93
; NumAgprs: 0
; TotalNumVgprs: 93
; ScratchSize: 0
; MemoryBound: 0
; FloatMode: 240
; IeeeMode: 1
; LDSByteSize: 0 bytes/workgroup (compile time only)
; SGPRBlocks: 6
; VGPRBlocks: 11
; NumSGPRsForWavesPerEU: 54
; NumVGPRsForWavesPerEU: 93
; AccumOffset: 96
; Occupancy: 5
; WaveLimiterHint : 1
; COMPUTE_PGM_RSRC2:SCRATCH_EN: 0
; COMPUTE_PGM_RSRC2:USER_SGPR: 2
; COMPUTE_PGM_RSRC2:TRAP_HANDLER: 0
; COMPUTE_PGM_RSRC2:TGID_X_EN: 1
; COMPUTE_PGM_RSRC2:TGID_Y_EN: 0
; COMPUTE_PGM_RSRC2:TGID_Z_EN: 0
; COMPUTE_PGM_RSRC2:TIDIG_COMP_CNT: 1
; COMPUTE_PGM_RSRC3_GFX90A:ACCUM_OFFSET: 23
; COMPUTE_PGM_RSRC3_GFX90A:TG_SPLIT: 0
	.section	.text._Z13topk_moe_cudaILi576ELb1EEvPKfPfPiS2_iiff15topk_moe_config,"axG",@progbits,_Z13topk_moe_cudaILi576ELb1EEvPKfPfPiS2_iiff15topk_moe_config,comdat
	.protected	_Z13topk_moe_cudaILi576ELb1EEvPKfPfPiS2_iiff15topk_moe_config ; -- Begin function _Z13topk_moe_cudaILi576ELb1EEvPKfPfPiS2_iiff15topk_moe_config
	.globl	_Z13topk_moe_cudaILi576ELb1EEvPKfPfPiS2_iiff15topk_moe_config
	.p2align	8
	.type	_Z13topk_moe_cudaILi576ELb1EEvPKfPfPiS2_iiff15topk_moe_config,@function
_Z13topk_moe_cudaILi576ELb1EEvPKfPfPiS2_iiff15topk_moe_config: ; @_Z13topk_moe_cudaILi576ELb1EEvPKfPfPiS2_iiff15topk_moe_config
; %bb.0:
	s_load_dword s3, s[0:1], 0x44
	s_load_dwordx4 s[44:47], s[0:1], 0x20
	v_bfe_u32 v1, v0, 10, 10
	s_waitcnt lgkmcnt(0)
	s_lshr_b32 s3, s3, 16
	s_mul_i32 s2, s2, s3
	v_add_u32_e32 v92, s2, v1
	v_cmp_gt_i32_e32 vcc, s44, v92
	s_and_saveexec_b64 s[2:3], vcc
	s_cbranch_execz .LBB10_61
; %bb.1:
	s_load_dwordx8 s[36:43], s[0:1], 0x0
	s_movk_i32 s2, 0x240
	v_mul_lo_u32 v2, v92, s2
	v_ashrrev_i32_e32 v3, 31, v2
	v_and_b32_e32 v93, 0x3ff, v0
	s_waitcnt lgkmcnt(0)
	v_mov_b32_e32 v4, s36
	v_mov_b32_e32 v5, s37
	;; [unrolled: 1-line block ×3, first 2 shown]
	v_lshl_add_u64 v[4:5], v[2:3], 2, v[4:5]
	v_lshlrev_b32_e32 v66, 2, v93
	v_lshl_add_u64 v[4:5], v[4:5], 0, v[66:67]
	global_load_dword v37, v[4:5], off
	global_load_dword v36, v[4:5], off offset:128
	global_load_dword v20, v[4:5], off offset:256
	;; [unrolled: 1-line block ×17, first 2 shown]
	global_load_ushort v1, v67, s[0:1] offset:48
	s_load_dword s0, s[0:1], 0x30
	s_waitcnt vmcnt(0)
	v_readfirstlane_b32 s1, v1
	s_and_b32 s4, 0xffff, s1
	s_waitcnt lgkmcnt(0)
	s_bitcmp1_b32 s0, 16
	s_cselect_b64 s[2:3], -1, 0
	s_and_b64 vcc, exec, s[2:3]
	s_cbranch_vccnz .LBB10_7
; %bb.2:
	v_and_b32_e32 v0, 1, v1
	v_cmp_eq_u32_e32 vcc, 0, v0
	s_cbranch_vccz .LBB10_4
; %bb.3:
	s_mov_b32 s0, 0xff800000
	v_max3_f32 v0, v37, s0, v36
	v_max3_f32 v0, v0, v20, v21
	;; [unrolled: 1-line block ×3, first 2 shown]
	v_mbcnt_lo_u32_b32 v1, -1, 0
	v_max3_f32 v0, v0, v24, v25
	v_mbcnt_hi_u32_b32 v1, -1, v1
	v_max3_f32 v0, v0, v26, v27
	v_and_b32_e32 v4, 0x60, v1
	v_max3_f32 v0, v0, v28, v29
	v_add_u32_e32 v4, 32, v4
	v_xor_b32_e32 v5, 16, v1
	v_max3_f32 v0, v0, v30, v31
	v_cmp_lt_i32_e32 vcc, v5, v4
	v_max3_f32 v0, v0, v35, v34
	v_max3_f32 v0, v0, v33, v32
	v_cndmask_b32_e32 v5, v1, v5, vcc
	v_lshlrev_b32_e32 v38, 2, v5
	ds_bpermute_b32 v5, v38, v0
	s_mov_b32 s1, 0x3fb8aa3b
	s_mov_b32 s0, 0xc2ce8ed0
	;; [unrolled: 1-line block ×3, first 2 shown]
	v_mov_b32_e32 v19, 0x7f800000
	s_waitcnt lgkmcnt(0)
	v_max_f32_e32 v5, v5, v5
	v_max_f32_e32 v0, v0, v5
	v_xor_b32_e32 v5, 8, v1
	v_cmp_lt_i32_e32 vcc, v5, v4
	s_nop 1
	v_cndmask_b32_e32 v5, v1, v5, vcc
	v_lshlrev_b32_e32 v39, 2, v5
	ds_bpermute_b32 v5, v39, v0
	s_waitcnt lgkmcnt(0)
	v_max_f32_e32 v5, v5, v5
	v_max_f32_e32 v0, v0, v5
	v_xor_b32_e32 v5, 4, v1
	v_cmp_lt_i32_e32 vcc, v5, v4
	s_nop 1
	v_cndmask_b32_e32 v5, v1, v5, vcc
	v_lshlrev_b32_e32 v40, 2, v5
	ds_bpermute_b32 v5, v40, v0
	;; [unrolled: 9-line block ×4, first 2 shown]
	s_waitcnt lgkmcnt(0)
	v_max_f32_e32 v1, v1, v1
	v_max_f32_e32 v18, v0, v1
	v_sub_f32_e32 v0, v37, v18
	v_mul_f32_e32 v1, 0x3fb8aa3b, v0
	v_fma_f32 v4, v0, s1, -v1
	v_rndne_f32_e32 v5, v1
	v_fmac_f32_e32 v4, 0x32a5705f, v0
	v_sub_f32_e32 v1, v1, v5
	v_add_f32_e32 v1, v1, v4
	v_exp_f32_e32 v1, v1
	v_cvt_i32_f32_e32 v4, v5
	v_cmp_ngt_f32_e32 vcc, s0, v0
	v_ldexp_f32 v1, v1, v4
	v_sub_f32_e32 v4, v36, v18
	v_mul_f32_e32 v5, 0x3fb8aa3b, v4
	v_fma_f32 v6, v4, s1, -v5
	v_rndne_f32_e32 v7, v5
	v_fmac_f32_e32 v6, 0x32a5705f, v4
	v_sub_f32_e32 v5, v5, v7
	v_add_f32_e32 v5, v5, v6
	v_exp_f32_e32 v5, v5
	v_cvt_i32_f32_e32 v6, v7
	v_cndmask_b32_e32 v1, 0, v1, vcc
	v_cmp_nlt_f32_e32 vcc, s5, v0
	s_nop 1
	v_cndmask_b32_e32 v0, v19, v1, vcc
	v_ldexp_f32 v1, v5, v6
	v_sub_f32_e32 v5, v20, v18
	v_mul_f32_e32 v6, 0x3fb8aa3b, v5
	v_fma_f32 v7, v5, s1, -v6
	v_rndne_f32_e32 v8, v6
	v_fmac_f32_e32 v7, 0x32a5705f, v5
	v_sub_f32_e32 v6, v6, v8
	v_add_f32_e32 v6, v6, v7
	v_exp_f32_e32 v6, v6
	v_cvt_i32_f32_e32 v7, v8
	v_cmp_ngt_f32_e32 vcc, s0, v4
	s_nop 1
	v_cndmask_b32_e32 v1, 0, v1, vcc
	v_cmp_nlt_f32_e32 vcc, s5, v4
	v_ldexp_f32 v4, v6, v7
	v_sub_f32_e32 v6, v21, v18
	v_mul_f32_e32 v7, 0x3fb8aa3b, v6
	v_fma_f32 v9, v6, s1, -v7
	v_rndne_f32_e32 v10, v7
	v_fmac_f32_e32 v9, 0x32a5705f, v6
	v_sub_f32_e32 v7, v7, v10
	v_add_f32_e32 v7, v7, v9
	v_exp_f32_e32 v7, v7
	v_cvt_i32_f32_e32 v9, v10
	v_cndmask_b32_e32 v1, v19, v1, vcc
	v_cmp_ngt_f32_e32 vcc, s0, v5
	v_add_f32_e32 v8, v0, v1
	s_nop 0
	v_cndmask_b32_e32 v4, 0, v4, vcc
	v_cmp_nlt_f32_e32 vcc, s5, v5
	v_ldexp_f32 v5, v7, v9
	v_sub_f32_e32 v7, v22, v18
	v_mul_f32_e32 v9, 0x3fb8aa3b, v7
	v_fma_f32 v10, v7, s1, -v9
	v_rndne_f32_e32 v11, v9
	v_fmac_f32_e32 v10, 0x32a5705f, v7
	v_sub_f32_e32 v9, v9, v11
	v_add_f32_e32 v9, v9, v10
	v_exp_f32_e32 v9, v9
	v_cvt_i32_f32_e32 v10, v11
	v_cndmask_b32_e32 v4, v19, v4, vcc
	v_cmp_ngt_f32_e32 vcc, s0, v6
	v_add_f32_e32 v8, v4, v8
	;; [unrolled: 16-line block ×4, first 2 shown]
	s_nop 0
	v_cndmask_b32_e32 v7, 0, v7, vcc
	v_cmp_nlt_f32_e32 vcc, s5, v9
	s_nop 1
	v_cndmask_b32_e32 v7, v19, v7, vcc
	v_add_f32_e32 v9, v7, v8
	v_ldexp_f32 v8, v11, v12
	v_sub_f32_e32 v11, v25, v18
	v_mul_f32_e32 v12, 0x3fb8aa3b, v11
	v_fma_f32 v13, v11, s1, -v12
	v_rndne_f32_e32 v14, v12
	v_fmac_f32_e32 v13, 0x32a5705f, v11
	v_sub_f32_e32 v12, v12, v14
	v_add_f32_e32 v12, v12, v13
	v_exp_f32_e32 v12, v12
	v_cvt_i32_f32_e32 v13, v14
	v_cmp_ngt_f32_e32 vcc, s0, v10
	s_nop 1
	v_cndmask_b32_e32 v8, 0, v8, vcc
	v_cmp_nlt_f32_e32 vcc, s5, v10
	s_nop 1
	v_cndmask_b32_e32 v8, v19, v8, vcc
	v_add_f32_e32 v10, v8, v9
	v_ldexp_f32 v9, v12, v13
	v_sub_f32_e32 v12, v26, v18
	v_mul_f32_e32 v13, 0x3fb8aa3b, v12
	v_fma_f32 v14, v12, s1, -v13
	v_rndne_f32_e32 v15, v13
	v_fmac_f32_e32 v14, 0x32a5705f, v12
	v_sub_f32_e32 v13, v13, v15
	v_add_f32_e32 v13, v13, v14
	v_exp_f32_e32 v13, v13
	v_cvt_i32_f32_e32 v14, v15
	v_cmp_ngt_f32_e32 vcc, s0, v11
	;; [unrolled: 17-line block ×10, first 2 shown]
	s_nop 1
	v_cndmask_b32_e32 v17, 0, v17, vcc
	v_cmp_nlt_f32_e32 vcc, s5, v44
	v_ldexp_f32 v44, v46, v47
	v_sub_f32_e32 v46, v32, v18
	v_mul_f32_e32 v18, 0x3fb8aa3b, v46
	v_fma_f32 v47, v46, s1, -v18
	v_rndne_f32_e32 v48, v18
	v_fmac_f32_e32 v47, 0x32a5705f, v46
	v_sub_f32_e32 v18, v18, v48
	v_add_f32_e32 v18, v18, v47
	v_exp_f32_e32 v47, v18
	v_cvt_i32_f32_e32 v48, v48
	v_cndmask_b32_e32 v17, v19, v17, vcc
	v_cmp_ngt_f32_e32 vcc, s0, v45
	v_add_f32_e32 v43, v17, v43
	s_nop 0
	v_cndmask_b32_e32 v44, 0, v44, vcc
	v_cmp_nlt_f32_e32 vcc, s5, v45
	s_nop 1
	v_cndmask_b32_e32 v18, v19, v44, vcc
	v_ldexp_f32 v44, v47, v48
	v_cmp_ngt_f32_e32 vcc, s0, v46
	v_add_f32_e32 v43, v18, v43
	s_nop 0
	v_cndmask_b32_e32 v44, 0, v44, vcc
	v_cmp_nlt_f32_e32 vcc, s5, v46
	s_nop 1
	v_cndmask_b32_e32 v19, v19, v44, vcc
	v_add_f32_e32 v43, v19, v43
	ds_bpermute_b32 v38, v38, v43
	s_waitcnt lgkmcnt(0)
	v_add_f32_e32 v38, v43, v38
	ds_bpermute_b32 v39, v39, v38
	s_waitcnt lgkmcnt(0)
	;; [unrolled: 3-line block ×5, first 2 shown]
	v_add_f32_e32 v38, v38, v39
	v_div_scale_f32 v39, s[0:1], v38, v38, 1.0
	v_rcp_f32_e32 v40, v39
	s_nop 0
	v_fma_f32 v41, -v39, v40, 1.0
	v_fmac_f32_e32 v40, v41, v40
	v_div_scale_f32 v41, vcc, 1.0, v38, 1.0
	v_mul_f32_e32 v42, v41, v40
	v_fma_f32 v43, -v39, v42, v41
	v_fmac_f32_e32 v42, v43, v40
	v_fma_f32 v39, -v39, v42, v41
	v_div_fmas_f32 v39, v39, v40, v42
	v_div_fixup_f32 v38, v39, v38, 1.0
	v_pk_mul_f32 v[0:1], v[0:1], v[38:39] op_sel_hi:[1,0]
	v_pk_mul_f32 v[4:5], v[4:5], v[38:39] op_sel_hi:[1,0]
	;; [unrolled: 1-line block ×9, first 2 shown]
	s_cbranch_execz .LBB10_5
	s_branch .LBB10_6
.LBB10_4:
                                        ; implicit-def: $vgpr19
                                        ; implicit-def: $vgpr17
                                        ; implicit-def: $vgpr15
                                        ; implicit-def: $vgpr13
                                        ; implicit-def: $vgpr11
                                        ; implicit-def: $vgpr9
                                        ; implicit-def: $vgpr7
                                        ; implicit-def: $vgpr5
                                        ; implicit-def: $vgpr1
.LBB10_5:
	v_mul_f32_e32 v0, 0xbfb8aa3b, v37
	s_mov_b32 s5, 0xbfb8aa3b
	v_rndne_f32_e32 v1, v0
	v_sub_f32_e32 v4, v0, v1
	v_fma_f32 v0, v37, s5, -v0
	v_fmac_f32_e32 v0, 0xb2a5705f, v37
	v_add_f32_e32 v0, v4, v0
	v_exp_f32_e32 v0, v0
	v_cvt_i32_f32_e32 v1, v1
	s_mov_b32 s6, 0x42ce8ed0
	v_cmp_nlt_f32_e32 vcc, s6, v37
	s_mov_b32 s7, 0xc2b17218
	v_ldexp_f32 v0, v0, v1
	v_mul_f32_e32 v1, 0xbfb8aa3b, v36
	v_rndne_f32_e32 v4, v1
	v_sub_f32_e32 v5, v1, v4
	v_fma_f32 v1, v36, s5, -v1
	v_fmac_f32_e32 v1, 0xb2a5705f, v36
	v_add_f32_e32 v1, v5, v1
	v_exp_f32_e32 v1, v1
	v_cvt_i32_f32_e32 v4, v4
	v_cndmask_b32_e32 v0, 0, v0, vcc
	v_mov_b32_e32 v17, 0x7f800000
	v_cmp_ngt_f32_e32 vcc, s7, v37
	v_ldexp_f32 v1, v1, v4
	s_nop 0
	v_cndmask_b32_e32 v0, v17, v0, vcc
	v_cmp_nlt_f32_e32 vcc, s6, v36
	s_nop 1
	v_cndmask_b32_e32 v1, 0, v1, vcc
	v_cmp_ngt_f32_e32 vcc, s7, v36
	s_nop 1
	v_cndmask_b32_e32 v1, v17, v1, vcc
	v_pk_add_f32 v[0:1], v[0:1], 1.0 op_sel_hi:[1,0]
	s_nop 0
	v_div_scale_f32 v4, s[0:1], v0, v0, 1.0
	v_rcp_f32_e32 v5, v4
	s_nop 0
	v_fma_f32 v6, -v4, v5, 1.0
	v_fmac_f32_e32 v5, v6, v5
	v_div_scale_f32 v6, vcc, 1.0, v0, 1.0
	v_mul_f32_e32 v7, v6, v5
	v_fma_f32 v8, -v4, v7, v6
	v_fmac_f32_e32 v7, v8, v5
	v_fma_f32 v4, -v4, v7, v6
	v_div_scale_f32 v6, s[0:1], v1, v1, 1.0
	v_rcp_f32_e32 v8, v6
	v_div_fmas_f32 v4, v4, v5, v7
	v_mul_f32_e32 v5, 0xbfb8aa3b, v20
	v_rndne_f32_e32 v9, v5
	v_sub_f32_e32 v10, v5, v9
	v_fma_f32 v5, v20, s5, -v5
	v_fmac_f32_e32 v5, 0xb2a5705f, v20
	v_div_fixup_f32 v0, v4, v0, 1.0
	v_fma_f32 v4, -v6, v8, 1.0
	v_add_f32_e32 v5, v10, v5
	v_fmac_f32_e32 v8, v4, v8
	v_div_scale_f32 v4, vcc, 1.0, v1, 1.0
	v_exp_f32_e32 v5, v5
	v_cvt_i32_f32_e32 v9, v9
	v_mul_f32_e32 v7, v4, v8
	v_fma_f32 v10, -v6, v7, v4
	v_fmac_f32_e32 v7, v10, v8
	v_fma_f32 v6, -v6, v7, v4
	v_ldexp_f32 v4, v5, v9
	v_mul_f32_e32 v5, 0xbfb8aa3b, v21
	v_rndne_f32_e32 v9, v5
	v_sub_f32_e32 v10, v5, v9
	v_fma_f32 v5, v21, s5, -v5
	v_fmac_f32_e32 v5, 0xb2a5705f, v21
	v_add_f32_e32 v5, v10, v5
	v_exp_f32_e32 v5, v5
	v_cvt_i32_f32_e32 v9, v9
	v_cmp_nlt_f32_e64 s[0:1], s6, v20
	v_div_fmas_f32 v6, v6, v8, v7
	v_div_fixup_f32 v1, v6, v1, 1.0
	v_cndmask_b32_e64 v4, 0, v4, s[0:1]
	v_cmp_ngt_f32_e64 s[0:1], s7, v20
	v_ldexp_f32 v5, v5, v9
	s_nop 0
	v_cndmask_b32_e64 v4, v17, v4, s[0:1]
	v_cmp_nlt_f32_e64 s[0:1], s6, v21
	s_nop 1
	v_cndmask_b32_e64 v5, 0, v5, s[0:1]
	v_cmp_ngt_f32_e64 s[0:1], s7, v21
	s_nop 1
	v_cndmask_b32_e64 v5, v17, v5, s[0:1]
	v_pk_add_f32 v[4:5], v[4:5], 1.0 op_sel_hi:[1,0]
	s_nop 0
	v_div_scale_f32 v9, s[0:1], v4, v4, 1.0
	v_rcp_f32_e32 v10, v9
	s_nop 0
	v_fma_f32 v6, -v9, v10, 1.0
	v_fmac_f32_e32 v10, v6, v10
	v_div_scale_f32 v6, vcc, 1.0, v4, 1.0
	v_mul_f32_e32 v7, v6, v10
	v_fma_f32 v8, -v9, v7, v6
	v_fmac_f32_e32 v7, v8, v10
	v_fma_f32 v6, -v9, v7, v6
	v_div_scale_f32 v8, s[0:1], v5, v5, 1.0
	v_rcp_f32_e32 v9, v8
	v_div_fmas_f32 v6, v6, v10, v7
	v_mul_f32_e32 v7, 0xbfb8aa3b, v22
	v_rndne_f32_e32 v11, v7
	v_sub_f32_e32 v12, v7, v11
	v_fma_f32 v7, v22, s5, -v7
	v_fmac_f32_e32 v7, 0xb2a5705f, v22
	v_div_fixup_f32 v4, v6, v4, 1.0
	v_fma_f32 v6, -v8, v9, 1.0
	v_add_f32_e32 v7, v12, v7
	v_fmac_f32_e32 v9, v6, v9
	v_div_scale_f32 v6, vcc, 1.0, v5, 1.0
	v_exp_f32_e32 v7, v7
	v_cvt_i32_f32_e32 v11, v11
	v_mul_f32_e32 v10, v6, v9
	v_fma_f32 v12, -v8, v10, v6
	v_fmac_f32_e32 v10, v12, v9
	v_fma_f32 v8, -v8, v10, v6
	v_ldexp_f32 v6, v7, v11
	v_mul_f32_e32 v7, 0xbfb8aa3b, v23
	v_rndne_f32_e32 v11, v7
	v_sub_f32_e32 v12, v7, v11
	v_fma_f32 v7, v23, s5, -v7
	v_fmac_f32_e32 v7, 0xb2a5705f, v23
	v_add_f32_e32 v7, v12, v7
	v_exp_f32_e32 v7, v7
	v_cvt_i32_f32_e32 v11, v11
	v_cmp_nlt_f32_e64 s[0:1], s6, v22
	v_div_fmas_f32 v8, v8, v9, v10
	v_div_fixup_f32 v5, v8, v5, 1.0
	v_cndmask_b32_e64 v6, 0, v6, s[0:1]
	v_cmp_ngt_f32_e64 s[0:1], s7, v22
	v_ldexp_f32 v7, v7, v11
	s_nop 0
	v_cndmask_b32_e64 v6, v17, v6, s[0:1]
	v_cmp_nlt_f32_e64 s[0:1], s6, v23
	s_nop 1
	v_cndmask_b32_e64 v7, 0, v7, s[0:1]
	v_cmp_ngt_f32_e64 s[0:1], s7, v23
	s_nop 1
	v_cndmask_b32_e64 v7, v17, v7, s[0:1]
	;; [unrolled: 54-line block ×6, first 2 shown]
	v_pk_add_f32 v[14:15], v[14:15], 1.0 op_sel_hi:[1,0]
	s_nop 0
	v_div_scale_f32 v20, s[0:1], v14, v14, 1.0
	v_rcp_f32_e32 v21, v20
	s_nop 0
	v_fma_f32 v16, -v20, v21, 1.0
	v_fmac_f32_e32 v21, v16, v21
	v_div_scale_f32 v16, vcc, 1.0, v14, 1.0
	v_mul_f32_e32 v18, v16, v21
	v_fma_f32 v19, -v20, v18, v16
	v_fmac_f32_e32 v18, v19, v21
	v_div_scale_f32 v19, s[0:1], v15, v15, 1.0
	v_fma_f32 v16, -v20, v18, v16
	v_rcp_f32_e32 v20, v19
	v_div_fmas_f32 v16, v16, v21, v18
	v_mul_f32_e32 v18, 0xbfb8aa3b, v35
	v_rndne_f32_e32 v22, v18
	v_sub_f32_e32 v23, v18, v22
	v_fma_f32 v18, v35, s5, -v18
	v_div_fixup_f32 v14, v16, v14, 1.0
	v_fma_f32 v16, -v19, v20, 1.0
	v_fmac_f32_e32 v18, 0xb2a5705f, v35
	v_fmac_f32_e32 v20, v16, v20
	v_div_scale_f32 v16, vcc, 1.0, v15, 1.0
	v_add_f32_e32 v18, v23, v18
	v_mul_f32_e32 v21, v16, v20
	v_exp_f32_e32 v18, v18
	v_cvt_i32_f32_e32 v22, v22
	v_fma_f32 v23, -v19, v21, v16
	v_fmac_f32_e32 v21, v23, v20
	v_fma_f32 v16, -v19, v21, v16
	v_mul_f32_e32 v19, 0xbfb8aa3b, v34
	v_ldexp_f32 v18, v18, v22
	v_rndne_f32_e32 v22, v19
	v_sub_f32_e32 v23, v19, v22
	v_fma_f32 v19, v34, s5, -v19
	v_fmac_f32_e32 v19, 0xb2a5705f, v34
	v_add_f32_e32 v19, v23, v19
	v_exp_f32_e32 v19, v19
	v_cvt_i32_f32_e32 v22, v22
	v_cmp_nlt_f32_e64 s[0:1], s6, v35
	v_div_fmas_f32 v16, v16, v20, v21
	v_div_fixup_f32 v15, v16, v15, 1.0
	v_cndmask_b32_e64 v18, 0, v18, s[0:1]
	v_cmp_ngt_f32_e64 s[0:1], s7, v35
	v_ldexp_f32 v19, v19, v22
	s_nop 0
	v_cndmask_b32_e64 v18, v17, v18, s[0:1]
	v_cmp_nlt_f32_e64 s[0:1], s6, v34
	s_nop 1
	v_cndmask_b32_e64 v19, 0, v19, s[0:1]
	v_cmp_ngt_f32_e64 s[0:1], s7, v34
	s_nop 1
	v_cndmask_b32_e64 v19, v17, v19, s[0:1]
	v_pk_add_f32 v[18:19], v[18:19], 1.0 op_sel_hi:[1,0]
	s_nop 0
	v_div_scale_f32 v22, s[0:1], v18, v18, 1.0
	v_rcp_f32_e32 v23, v22
	s_nop 0
	v_fma_f32 v16, -v22, v23, 1.0
	v_fmac_f32_e32 v23, v16, v23
	v_div_scale_f32 v16, vcc, 1.0, v18, 1.0
	v_mul_f32_e32 v20, v16, v23
	v_fma_f32 v21, -v22, v20, v16
	v_fmac_f32_e32 v20, v21, v23
	v_div_scale_f32 v21, s[0:1], v19, v19, 1.0
	v_fma_f32 v16, -v22, v20, v16
	v_rcp_f32_e32 v22, v21
	v_div_fmas_f32 v16, v16, v23, v20
	v_mul_f32_e32 v20, 0xbfb8aa3b, v33
	v_rndne_f32_e32 v24, v20
	v_sub_f32_e32 v25, v20, v24
	v_fma_f32 v20, v33, s5, -v20
	v_div_fixup_f32 v16, v16, v18, 1.0
	v_fma_f32 v18, -v21, v22, 1.0
	v_fmac_f32_e32 v20, 0xb2a5705f, v33
	v_fmac_f32_e32 v22, v18, v22
	v_div_scale_f32 v18, vcc, 1.0, v19, 1.0
	v_add_f32_e32 v20, v25, v20
	v_mul_f32_e32 v23, v18, v22
	v_exp_f32_e32 v20, v20
	v_cvt_i32_f32_e32 v24, v24
	v_fma_f32 v25, -v21, v23, v18
	v_fmac_f32_e32 v23, v25, v22
	v_fma_f32 v18, -v21, v23, v18
	v_mul_f32_e32 v21, 0xbfb8aa3b, v32
	v_ldexp_f32 v20, v20, v24
	v_rndne_f32_e32 v24, v21
	v_sub_f32_e32 v25, v21, v24
	v_fma_f32 v21, v32, s5, -v21
	v_fmac_f32_e32 v21, 0xb2a5705f, v32
	v_add_f32_e32 v21, v25, v21
	v_exp_f32_e32 v21, v21
	v_cvt_i32_f32_e32 v24, v24
	v_cmp_nlt_f32_e64 s[0:1], s6, v33
	v_ldexp_f32 v21, v21, v24
	s_nop 0
	v_cndmask_b32_e64 v20, 0, v20, s[0:1]
	v_cmp_ngt_f32_e64 s[0:1], s7, v33
	s_nop 1
	v_cndmask_b32_e64 v20, v17, v20, s[0:1]
	v_cmp_nlt_f32_e64 s[0:1], s6, v32
	s_nop 1
	v_cndmask_b32_e64 v21, 0, v21, s[0:1]
	v_cmp_ngt_f32_e64 s[0:1], s7, v32
	s_nop 1
	v_cndmask_b32_e64 v21, v17, v21, s[0:1]
	v_pk_add_f32 v[20:21], v[20:21], 1.0 op_sel_hi:[1,0]
	v_div_fmas_f32 v17, v18, v22, v23
	v_div_scale_f32 v24, s[0:1], v20, v20, 1.0
	v_rcp_f32_e32 v25, v24
	v_div_fixup_f32 v17, v17, v19, 1.0
	v_fma_f32 v18, -v24, v25, 1.0
	v_fmac_f32_e32 v25, v18, v25
	v_div_scale_f32 v18, vcc, 1.0, v20, 1.0
	v_mul_f32_e32 v19, v18, v25
	v_fma_f32 v22, -v24, v19, v18
	v_fmac_f32_e32 v19, v22, v25
	v_div_scale_f32 v22, s[0:1], v21, v21, 1.0
	v_rcp_f32_e32 v23, v22
	v_fma_f32 v18, -v24, v19, v18
	v_div_fmas_f32 v18, v18, v25, v19
	v_div_fixup_f32 v18, v18, v20, 1.0
	v_fma_f32 v19, -v22, v23, 1.0
	v_fmac_f32_e32 v23, v19, v23
	v_div_scale_f32 v19, vcc, 1.0, v21, 1.0
	v_mul_f32_e32 v20, v19, v23
	v_fma_f32 v24, -v22, v20, v19
	v_fmac_f32_e32 v20, v24, v23
	v_fma_f32 v19, -v22, v20, v19
	v_div_fmas_f32 v19, v19, v23, v20
	v_div_fixup_f32 v19, v19, v21, 1.0
.LBB10_6:
	v_mov_b32_e32 v37, v0
	v_mov_b32_e32 v36, v1
	;; [unrolled: 1-line block ×18, first 2 shown]
.LBB10_7:
	s_lshr_b32 s6, s4, 8
	s_cmp_gt_i32 s45, 0
	s_cbranch_scc1 .LBB10_9
; %bb.8:
	s_bitcmp1_b32 s6, 0
	s_mov_b64 s[0:1], 0
	s_cselect_b64 s[4:5], -1, 0
	s_branch .LBB10_10
.LBB10_9:
	s_mov_b64 s[0:1], -1
                                        ; implicit-def: $sgpr4_sgpr5
.LBB10_10:
	v_add_u32_e32 v110, 32, v93
	v_add_u32_e32 v109, 64, v93
	;; [unrolled: 1-line block ×17, first 2 shown]
	s_mov_b32 s10, 0
	s_andn2_b64 vcc, exec, s[0:1]
	v_mbcnt_lo_u32_b32 v67, -1, 0
	s_cbranch_vccnz .LBB10_37
; %bb.11:
	global_load_dword v0, v66, s[42:43]
	global_load_dword v1, v66, s[42:43] offset:128
	global_load_dword v4, v66, s[42:43] offset:256
	;; [unrolled: 1-line block ×17, first 2 shown]
	v_mov_b32_e32 v42, 0xff7fffff
	v_cmp_o_f32_e32 vcc, v37, v37
	v_mov_b32_e32 v40, s40
	v_mov_b32_e32 v41, s41
	v_cndmask_b32_e32 v18, v42, v37, vcc
	v_cmp_o_f32_e32 vcc, v36, v36
	v_mbcnt_hi_u32_b32 v43, -1, v67
	v_lshl_add_u64 v[72:73], v[2:3], 2, v[40:41]
	v_cndmask_b32_e32 v19, v42, v36, vcc
	v_cmp_o_f32_e32 vcc, v20, v20
	v_and_b32_e32 v2, 0x60, v43
	v_xor_b32_e32 v3, 16, v43
	v_cndmask_b32_e32 v20, v42, v20, vcc
	v_cmp_o_f32_e32 vcc, v21, v21
	v_add_u32_e32 v2, 32, v2
	s_bitcmp1_b32 s6, 0
	v_cndmask_b32_e32 v21, v42, v21, vcc
	v_cmp_o_f32_e32 vcc, v22, v22
	s_cselect_b64 s[4:5], -1, 0
	v_mov_b32_e32 v115, 0xff800000
	v_cndmask_b32_e32 v22, v42, v22, vcc
	v_cmp_o_f32_e32 vcc, v23, v23
	s_waitcnt vmcnt(16)
	v_pk_add_f32 v[74:75], v[18:19], v[0:1]
	v_cndmask_b32_e32 v23, v42, v23, vcc
	v_cmp_o_f32_e32 vcc, v24, v24
	s_waitcnt vmcnt(14)
	v_pk_add_f32 v[76:77], v[20:21], v[4:5]
	s_waitcnt vmcnt(12)
	v_pk_add_f32 v[78:79], v[22:23], v[6:7]
	v_cndmask_b32_e32 v24, v42, v24, vcc
	v_cmp_o_f32_e32 vcc, v25, v25
	s_nop 1
	v_cndmask_b32_e32 v25, v42, v25, vcc
	v_cmp_o_f32_e32 vcc, v26, v26
	s_waitcnt vmcnt(10)
	v_pk_add_f32 v[80:81], v[24:25], v[8:9]
	v_cndmask_b32_e32 v26, v42, v26, vcc
	v_cmp_o_f32_e32 vcc, v27, v27
	s_nop 1
	v_cndmask_b32_e32 v27, v42, v27, vcc
	v_cmp_o_f32_e32 vcc, v28, v28
	;; [unrolled: 7-line block ×5, first 2 shown]
	v_xor_b32_e32 v34, 4, v43
	s_waitcnt vmcnt(2)
	v_pk_add_f32 v[88:89], v[68:69], v[16:17]
	v_cndmask_b32_e32 v70, v42, v33, vcc
	v_cmp_o_f32_e32 vcc, v32, v32
	s_nop 1
	v_cndmask_b32_e32 v71, v42, v32, vcc
	v_xor_b32_e32 v32, 8, v43
	v_cmp_lt_i32_e32 vcc, v3, v2
	s_waitcnt vmcnt(0)
	v_pk_add_f32 v[90:91], v[70:71], v[38:39]
	v_cndmask_b32_e32 v3, v43, v3, vcc
	v_cmp_lt_i32_e32 vcc, v32, v2
	v_lshlrev_b32_e32 v33, 2, v3
	s_nop 0
	v_cndmask_b32_e32 v32, v43, v32, vcc
	v_cmp_lt_i32_e32 vcc, v34, v2
	v_lshlrev_b32_e32 v111, 2, v32
	v_mov_b32_e32 v32, 0
	v_cndmask_b32_e32 v0, v43, v34, vcc
	v_lshlrev_b32_e32 v112, 2, v0
	v_xor_b32_e32 v0, 2, v43
	v_cmp_lt_i32_e32 vcc, v0, v2
	v_mov_b32_e32 v1, v32
	v_mov_b32_e32 v3, v32
	v_cndmask_b32_e32 v0, v43, v0, vcc
	v_lshlrev_b32_e32 v113, 2, v0
	v_xor_b32_e32 v0, 1, v43
	v_cmp_lt_i32_e32 vcc, v0, v2
	v_mov_b32_e32 v2, v32
	v_mov_b32_e32 v4, v32
	v_cndmask_b32_e32 v0, v43, v0, vcc
	v_lshlrev_b32_e32 v114, 2, v0
	v_mov_b32_e32 v0, 0
	v_mov_b32_e32 v5, v32
	;; [unrolled: 1-line block ×14, first 2 shown]
	s_branch .LBB10_13
.LBB10_12:                              ;   in Loop: Header=BB10_13 Depth=1
	s_or_b64 exec, exec, s[0:1]
	s_and_b32 s0, s10, 31
	s_waitcnt lgkmcnt(0)
	v_mov_b64_e32 v[64:65], v[30:31]
	s_lshr_b32 s1, s10, 5
	v_mov_b64_e32 v[62:63], v[28:29]
	v_mov_b64_e32 v[60:61], v[26:27]
	;; [unrolled: 1-line block ×15, first 2 shown]
	v_cmp_eq_u32_e32 vcc, s0, v93
	s_add_i32 s10, s10, 1
	s_set_gpr_idx_on s1, gpr_idx(DST)
	v_mov_b32_e32 v34, v116
	s_set_gpr_idx_off
	v_cndmask_b32_e32 v17, v17, v51, vcc
	v_cndmask_b32_e32 v16, v16, v50, vcc
	;; [unrolled: 1-line block ×18, first 2 shown]
	s_cmp_eq_u32 s45, s10
	v_lshl_add_u64 v[72:73], v[72:73], 0, 4
	s_cbranch_scc1 .LBB10_38
.LBB10_13:                              ; =>This Inner Loop Header: Depth=1
	v_cmp_gt_f32_e32 vcc, v75, v74
	s_nop 1
	v_cndmask_b32_e32 v36, v74, v75, vcc
	v_cndmask_b32_e32 v34, v18, v19, vcc
	v_cndmask_b32_e32 v35, v93, v110, vcc
	v_cmp_gt_f32_e32 vcc, v76, v36
	s_nop 1
	v_cndmask_b32_e32 v36, v36, v76, vcc
	v_cndmask_b32_e32 v34, v34, v20, vcc
	v_cndmask_b32_e32 v35, v35, v109, vcc
	;; [unrolled: 5-line block ×17, first 2 shown]
	ds_bpermute_b32 v38, v33, v35
	ds_bpermute_b32 v37, v33, v116
	;; [unrolled: 1-line block ×3, first 2 shown]
	s_waitcnt lgkmcnt(2)
	v_cmp_lt_f32_e64 s[6:7], v35, v38
	v_cmp_nlt_f32_e32 vcc, v35, v38
	s_and_saveexec_b64 s[8:9], vcc
	s_cbranch_execz .LBB10_15
; %bb.14:                               ;   in Loop: Header=BB10_13 Depth=1
	v_cmp_eq_f32_e32 vcc, v35, v38
	s_waitcnt lgkmcnt(0)
	v_cmp_lt_i32_e64 s[0:1], v36, v34
	s_and_b64 s[0:1], vcc, s[0:1]
	s_andn2_b64 s[6:7], s[6:7], exec
	s_and_b64 s[0:1], s[0:1], exec
	s_or_b64 s[6:7], s[6:7], s[0:1]
.LBB10_15:                              ;   in Loop: Header=BB10_13 Depth=1
	s_or_b64 exec, exec, s[8:9]
	s_and_saveexec_b64 s[0:1], s[6:7]
	s_cbranch_execz .LBB10_17
; %bb.16:                               ;   in Loop: Header=BB10_13 Depth=1
	v_mov_b32_e32 v35, v38
	s_waitcnt lgkmcnt(1)
	v_mov_b32_e32 v116, v37
	s_waitcnt lgkmcnt(0)
	v_mov_b32_e32 v34, v36
.LBB10_17:                              ;   in Loop: Header=BB10_13 Depth=1
	s_or_b64 exec, exec, s[0:1]
	ds_bpermute_b32 v38, v111, v35
	s_waitcnt lgkmcnt(2)
	ds_bpermute_b32 v37, v111, v116
	s_waitcnt lgkmcnt(2)
	ds_bpermute_b32 v36, v111, v34
	s_waitcnt lgkmcnt(2)
	v_cmp_lt_f32_e64 s[6:7], v35, v38
	v_cmp_nlt_f32_e32 vcc, v35, v38
	s_and_saveexec_b64 s[8:9], vcc
	s_cbranch_execz .LBB10_19
; %bb.18:                               ;   in Loop: Header=BB10_13 Depth=1
	v_cmp_eq_f32_e32 vcc, v35, v38
	s_waitcnt lgkmcnt(0)
	v_cmp_lt_i32_e64 s[0:1], v36, v34
	s_and_b64 s[0:1], vcc, s[0:1]
	s_andn2_b64 s[6:7], s[6:7], exec
	s_and_b64 s[0:1], s[0:1], exec
	s_or_b64 s[6:7], s[6:7], s[0:1]
.LBB10_19:                              ;   in Loop: Header=BB10_13 Depth=1
	s_or_b64 exec, exec, s[8:9]
	s_and_saveexec_b64 s[0:1], s[6:7]
	s_cbranch_execz .LBB10_21
; %bb.20:                               ;   in Loop: Header=BB10_13 Depth=1
	v_mov_b32_e32 v35, v38
	s_waitcnt lgkmcnt(1)
	v_mov_b32_e32 v116, v37
	s_waitcnt lgkmcnt(0)
	v_mov_b32_e32 v34, v36
.LBB10_21:                              ;   in Loop: Header=BB10_13 Depth=1
	s_or_b64 exec, exec, s[0:1]
	ds_bpermute_b32 v38, v112, v35
	s_waitcnt lgkmcnt(2)
	ds_bpermute_b32 v37, v112, v116
	s_waitcnt lgkmcnt(2)
	ds_bpermute_b32 v36, v112, v34
	;; [unrolled: 30-line block ×4, first 2 shown]
	s_waitcnt lgkmcnt(2)
	v_cmp_lt_f32_e64 s[6:7], v35, v38
	v_cmp_nlt_f32_e32 vcc, v35, v38
	s_and_saveexec_b64 s[8:9], vcc
	s_cbranch_execz .LBB10_31
; %bb.30:                               ;   in Loop: Header=BB10_13 Depth=1
	v_cmp_eq_f32_e32 vcc, v35, v38
	s_waitcnt lgkmcnt(0)
	v_cmp_lt_i32_e64 s[0:1], v36, v34
	s_and_b64 s[0:1], vcc, s[0:1]
	s_andn2_b64 s[6:7], s[6:7], exec
	s_and_b64 s[0:1], s[0:1], exec
	s_or_b64 s[6:7], s[6:7], s[0:1]
.LBB10_31:                              ;   in Loop: Header=BB10_13 Depth=1
	s_or_b64 exec, exec, s[8:9]
	s_and_saveexec_b64 s[0:1], s[6:7]
	s_cbranch_execz .LBB10_33
; %bb.32:                               ;   in Loop: Header=BB10_13 Depth=1
	s_waitcnt lgkmcnt(1)
	v_mov_b32_e32 v116, v37
	s_waitcnt lgkmcnt(0)
	v_mov_b32_e32 v34, v36
.LBB10_33:                              ;   in Loop: Header=BB10_13 Depth=1
	s_or_b64 exec, exec, s[0:1]
	v_and_b32_e32 v35, 31, v34
	v_cmp_eq_u32_e32 vcc, v35, v93
	s_and_saveexec_b64 s[6:7], vcc
	s_cbranch_execz .LBB10_35
; %bb.34:                               ;   in Loop: Header=BB10_13 Depth=1
	v_ashrrev_i32_e32 v35, 31, v34
	v_lshrrev_b32_e32 v35, 27, v35
	v_add_u32_e32 v35, v34, v35
	v_ashrrev_i32_e32 v35, 5, v35
	v_cmp_ne_u32_e64 s[0:1], 17, v35
	s_nop 1
	v_cndmask_b32_e64 v91, v115, v91, s[0:1]
	v_cmp_ne_u32_e64 s[0:1], 16, v35
	s_nop 1
	v_cndmask_b32_e64 v90, v115, v90, s[0:1]
	v_cmp_ne_u32_e64 s[0:1], 15, v35
	s_nop 1
	v_cndmask_b32_e64 v89, v115, v89, s[0:1]
	v_cmp_ne_u32_e64 s[0:1], 14, v35
	s_nop 1
	v_cndmask_b32_e64 v88, v115, v88, s[0:1]
	v_cmp_ne_u32_e64 s[0:1], 13, v35
	s_nop 1
	v_cndmask_b32_e64 v87, v115, v87, s[0:1]
	v_cmp_ne_u32_e64 s[0:1], 12, v35
	s_nop 1
	v_cndmask_b32_e64 v86, v115, v86, s[0:1]
	v_cmp_ne_u32_e64 s[0:1], 11, v35
	s_nop 1
	v_cndmask_b32_e64 v85, v115, v85, s[0:1]
	v_cmp_ne_u32_e64 s[0:1], 10, v35
	s_nop 1
	v_cndmask_b32_e64 v84, v115, v84, s[0:1]
	v_cmp_ne_u32_e64 s[0:1], 9, v35
	s_nop 1
	v_cndmask_b32_e64 v83, v115, v83, s[0:1]
	v_cmp_ne_u32_e64 s[0:1], 8, v35
	s_nop 1
	v_cndmask_b32_e64 v82, v115, v82, s[0:1]
	v_cmp_ne_u32_e64 s[0:1], 7, v35
	s_nop 1
	v_cndmask_b32_e64 v81, v115, v81, s[0:1]
	v_cmp_ne_u32_e64 s[0:1], 6, v35
	s_nop 1
	v_cndmask_b32_e64 v80, v115, v80, s[0:1]
	v_cmp_ne_u32_e64 s[0:1], 5, v35
	s_nop 1
	v_cndmask_b32_e64 v79, v115, v79, s[0:1]
	v_cmp_ne_u32_e64 s[0:1], 4, v35
	s_nop 1
	v_cndmask_b32_e64 v78, v115, v78, s[0:1]
	v_cmp_ne_u32_e64 s[0:1], 3, v35
	s_nop 1
	v_cndmask_b32_e64 v77, v115, v77, s[0:1]
	v_cmp_ne_u32_e64 s[0:1], 2, v35
	s_nop 1
	v_cndmask_b32_e64 v76, v115, v76, s[0:1]
	v_cmp_ne_u32_e64 s[0:1], 1, v35
	s_nop 1
	v_cndmask_b32_e64 v75, v115, v75, s[0:1]
	v_cmp_ne_u32_e64 s[0:1], 0, v35
	s_nop 1
	v_cndmask_b32_e64 v74, v115, v74, s[0:1]
.LBB10_35:                              ;   in Loop: Header=BB10_13 Depth=1
	s_or_b64 exec, exec, s[6:7]
	s_and_saveexec_b64 s[0:1], vcc
	s_cbranch_execz .LBB10_12
; %bb.36:                               ;   in Loop: Header=BB10_13 Depth=1
	v_add_f32_e32 v35, v32, v116
	v_cndmask_b32_e64 v32, v32, v35, s[4:5]
	global_store_dword v[72:73], v34, off
	s_branch .LBB10_12
.LBB10_37:
	v_mov_b32_e32 v32, 0
	v_mov_b32_e32 v33, v32
	;; [unrolled: 1-line block ×18, first 2 shown]
	v_mov_b64_e32 v[0:1], v[32:33]
	v_mov_b64_e32 v[2:3], v[34:35]
	;; [unrolled: 1-line block ×16, first 2 shown]
.LBB10_38:
	s_and_b64 vcc, exec, s[4:5]
	s_cbranch_vccz .LBB10_40
; %bb.39:
	v_mbcnt_hi_u32_b32 v18, -1, v67
	v_and_b32_e32 v19, 0x60, v18
	v_add_u32_e32 v19, 32, v19
	v_xor_b32_e32 v20, 16, v18
	v_cmp_lt_i32_e32 vcc, v20, v19
	v_xor_b32_e32 v21, 8, v18
	v_xor_b32_e32 v22, 4, v18
	v_cndmask_b32_e32 v20, v18, v20, vcc
	v_lshlrev_b32_e32 v20, 2, v20
	ds_bpermute_b32 v20, v20, v32
	v_cmp_lt_i32_e32 vcc, v21, v19
	s_waitcnt lgkmcnt(0)
	v_add_f32_e32 v20, v32, v20
	v_cndmask_b32_e32 v21, v18, v21, vcc
	v_lshlrev_b32_e32 v21, 2, v21
	ds_bpermute_b32 v21, v21, v20
	v_cmp_lt_i32_e32 vcc, v22, v19
	s_waitcnt lgkmcnt(0)
	v_add_f32_e32 v20, v20, v21
	v_cndmask_b32_e32 v21, v18, v22, vcc
	v_lshlrev_b32_e32 v21, 2, v21
	ds_bpermute_b32 v21, v21, v20
	v_xor_b32_e32 v22, 2, v18
	v_cmp_lt_i32_e32 vcc, v22, v19
	s_waitcnt lgkmcnt(0)
	v_add_f32_e32 v20, v20, v21
	v_cndmask_b32_e32 v21, v18, v22, vcc
	v_lshlrev_b32_e32 v21, 2, v21
	ds_bpermute_b32 v21, v21, v20
	v_xor_b32_e32 v22, 1, v18
	v_cmp_lt_i32_e32 vcc, v22, v19
	v_max_f32_e64 v19, s46, s46
	s_waitcnt lgkmcnt(0)
	v_add_f32_e32 v20, v20, v21
	v_cndmask_b32_e32 v18, v18, v22, vcc
	v_lshlrev_b32_e32 v18, 2, v18
	ds_bpermute_b32 v18, v18, v20
	s_waitcnt lgkmcnt(0)
	v_add_f32_e32 v18, v20, v18
	v_max_f32_e32 v18, v18, v19
	v_div_scale_f32 v19, s[0:1], v18, v18, 1.0
	v_rcp_f32_e32 v20, v19
	v_div_scale_f32 v21, vcc, 1.0, v18, 1.0
	v_fma_f32 v22, -v19, v20, 1.0
	v_fmac_f32_e32 v20, v22, v20
	v_mul_f32_e32 v22, v21, v20
	v_fma_f32 v23, -v19, v22, v21
	v_fmac_f32_e32 v22, v23, v20
	v_fma_f32 v19, -v19, v22, v21
	v_div_fmas_f32 v19, v19, v20, v22
	v_div_fixup_f32 v18, v19, v18, 1.0
	v_pk_mul_f32 v[16:17], v[18:19], v[16:17] op_sel_hi:[0,1]
	v_pk_mul_f32 v[14:15], v[18:19], v[14:15] op_sel_hi:[0,1]
	;; [unrolled: 1-line block ×9, first 2 shown]
.LBB10_40:
	s_andn2_b64 vcc, exec, s[2:3]
	v_cmp_gt_i32_e64 s[34:35], s45, v110
	v_cmp_gt_i32_e64 s[30:31], s45, v109
	;; [unrolled: 1-line block ×18, first 2 shown]
	s_cbranch_vccnz .LBB10_42
; %bb.41:
	v_max_f32_e32 v18, v0, v0
	v_max_f32_e32 v18, 0xff800000, v18
	v_mov_b32_e32 v19, 0xff800000
	v_cndmask_b32_e64 v18, v19, v18, s[36:37]
	v_max_f32_e32 v19, v1, v1
	v_max_f32_e32 v19, v18, v19
	v_cndmask_b32_e64 v18, v18, v19, s[34:35]
	v_max_f32_e32 v19, v2, v2
	v_max_f32_e32 v19, v18, v19
	;; [unrolled: 3-line block ×5, first 2 shown]
	v_max_f32_e32 v19, v19, v20
	v_cndmask_b32_e64 v18, v18, v19, s[24:25]
	v_max_f32_e32 v19, v18, v18
	v_max_f32_e32 v20, v6, v6
	v_max_f32_e32 v19, v19, v20
	v_cndmask_b32_e64 v18, v18, v19, s[22:23]
	v_max_f32_e32 v19, v18, v18
	v_max_f32_e32 v20, v7, v7
	;; [unrolled: 4-line block ×12, first 2 shown]
	v_max_f32_e32 v19, v19, v20
	v_cndmask_b32_e64 v18, v18, v19, s[0:1]
	v_mbcnt_hi_u32_b32 v19, -1, v67
	v_and_b32_e32 v20, 0x60, v19
	v_add_u32_e32 v20, 32, v20
	v_xor_b32_e32 v21, 16, v19
	v_cmp_lt_i32_e32 vcc, v21, v20
	s_mov_b32 s41, 0x3fb8aa3b
	s_mov_b32 s33, 0xc2ce8ed0
	v_cndmask_b32_e32 v21, v19, v21, vcc
	v_lshlrev_b32_e32 v21, 2, v21
	ds_bpermute_b32 v22, v21, v18
	v_max_f32_e32 v18, v18, v18
	s_mov_b32 s40, 0x42b17218
	s_waitcnt lgkmcnt(0)
	v_max_f32_e32 v22, v22, v22
	v_max_f32_e32 v18, v18, v22
	v_xor_b32_e32 v22, 8, v19
	v_cmp_lt_i32_e32 vcc, v22, v20
	s_nop 1
	v_cndmask_b32_e32 v22, v19, v22, vcc
	v_lshlrev_b32_e32 v22, 2, v22
	ds_bpermute_b32 v23, v22, v18
	s_waitcnt lgkmcnt(0)
	v_max_f32_e32 v23, v23, v23
	v_max_f32_e32 v18, v18, v23
	v_xor_b32_e32 v23, 4, v19
	v_cmp_lt_i32_e32 vcc, v23, v20
	s_nop 1
	v_cndmask_b32_e32 v23, v19, v23, vcc
	v_lshlrev_b32_e32 v23, 2, v23
	ds_bpermute_b32 v24, v23, v18
	;; [unrolled: 9-line block ×4, first 2 shown]
	s_waitcnt lgkmcnt(0)
	v_max_f32_e32 v20, v20, v20
	v_max_f32_e32 v18, v18, v20
	v_sub_f32_e32 v0, v0, v18
	v_mul_f32_e32 v20, 0x3fb8aa3b, v0
	v_fma_f32 v25, v0, s41, -v20
	v_rndne_f32_e32 v26, v20
	v_fmac_f32_e32 v25, 0x32a5705f, v0
	v_sub_f32_e32 v20, v20, v26
	v_sub_f32_e32 v1, v1, v18
	v_add_f32_e32 v20, v20, v25
	v_cvt_i32_f32_e32 v25, v26
	v_mul_f32_e32 v26, 0x3fb8aa3b, v1
	v_fma_f32 v27, v1, s41, -v26
	v_rndne_f32_e32 v28, v26
	v_exp_f32_e32 v20, v20
	v_fmac_f32_e32 v27, 0x32a5705f, v1
	v_sub_f32_e32 v26, v26, v28
	v_add_f32_e32 v26, v26, v27
	v_exp_f32_e32 v26, v26
	v_cvt_i32_f32_e32 v27, v28
	v_ldexp_f32 v20, v20, v25
	v_cmp_ngt_f32_e32 vcc, s33, v0
	v_mov_b32_e32 v25, 0x7f800000
	v_sub_f32_e32 v2, v2, v18
	v_cndmask_b32_e32 v20, 0, v20, vcc
	v_cmp_nlt_f32_e32 vcc, s40, v0
	v_sub_f32_e32 v3, v3, v18
	v_sub_f32_e32 v4, v4, v18
	v_cndmask_b32_e32 v0, v25, v20, vcc
	v_ldexp_f32 v20, v26, v27
	v_mul_f32_e32 v26, 0x3fb8aa3b, v2
	v_fma_f32 v27, v2, s41, -v26
	v_rndne_f32_e32 v28, v26
	v_fmac_f32_e32 v27, 0x32a5705f, v2
	v_sub_f32_e32 v26, v26, v28
	v_add_f32_e32 v26, v26, v27
	v_exp_f32_e32 v26, v26
	v_cvt_i32_f32_e32 v27, v28
	v_cmp_ngt_f32_e32 vcc, s33, v1
	v_cndmask_b32_e64 v0, 0, v0, s[36:37]
	v_sub_f32_e32 v5, v5, v18
	v_ldexp_f32 v26, v26, v27
	v_mul_f32_e32 v27, 0x3fb8aa3b, v3
	v_fma_f32 v28, v3, s41, -v27
	v_rndne_f32_e32 v29, v27
	v_fmac_f32_e32 v28, 0x32a5705f, v3
	v_sub_f32_e32 v27, v27, v29
	v_cndmask_b32_e32 v20, 0, v20, vcc
	v_cmp_nlt_f32_e32 vcc, s40, v1
	v_add_f32_e32 v27, v27, v28
	v_exp_f32_e32 v27, v27
	v_cndmask_b32_e32 v1, v25, v20, vcc
	v_cmp_ngt_f32_e32 vcc, s33, v2
	v_cvt_i32_f32_e32 v28, v29
	v_add_f32_e32 v20, v1, v0
	v_cndmask_b32_e32 v26, 0, v26, vcc
	v_cmp_nlt_f32_e32 vcc, s40, v2
	v_cndmask_b32_e64 v20, v0, v20, s[34:35]
	v_sub_f32_e32 v6, v6, v18
	v_cndmask_b32_e32 v2, v25, v26, vcc
	v_add_f32_e32 v26, v20, v2
	v_cndmask_b32_e64 v20, v20, v26, s[30:31]
	v_ldexp_f32 v26, v27, v28
	v_mul_f32_e32 v27, 0x3fb8aa3b, v4
	v_fma_f32 v28, v4, s41, -v27
	v_rndne_f32_e32 v29, v27
	v_fmac_f32_e32 v28, 0x32a5705f, v4
	v_sub_f32_e32 v27, v27, v29
	v_add_f32_e32 v27, v27, v28
	v_cmp_ngt_f32_e32 vcc, s33, v3
	v_exp_f32_e32 v27, v27
	v_cvt_i32_f32_e32 v28, v29
	v_cndmask_b32_e32 v26, 0, v26, vcc
	v_cmp_nlt_f32_e32 vcc, s40, v3
	v_sub_f32_e32 v7, v7, v18
	v_sub_f32_e32 v8, v8, v18
	v_cndmask_b32_e32 v3, v25, v26, vcc
	v_add_f32_e32 v26, v20, v3
	v_cndmask_b32_e64 v20, v20, v26, s[28:29]
	v_ldexp_f32 v26, v27, v28
	v_mul_f32_e32 v27, 0x3fb8aa3b, v5
	v_fma_f32 v28, v5, s41, -v27
	v_rndne_f32_e32 v29, v27
	v_fmac_f32_e32 v28, 0x32a5705f, v5
	v_sub_f32_e32 v27, v27, v29
	v_add_f32_e32 v27, v27, v28
	v_cmp_ngt_f32_e32 vcc, s33, v4
	v_exp_f32_e32 v27, v27
	v_cvt_i32_f32_e32 v28, v29
	v_cndmask_b32_e32 v26, 0, v26, vcc
	v_cmp_nlt_f32_e32 vcc, s40, v4
	v_sub_f32_e32 v9, v9, v18
	;; [unrolled: 17-line block ×6, first 2 shown]
	v_mul_f32_e32 v18, 0x3fb8aa3b, v17
	v_cndmask_b32_e32 v8, v25, v26, vcc
	v_add_f32_e32 v26, v20, v8
	v_cndmask_b32_e64 v20, v20, v26, s[18:19]
	v_ldexp_f32 v26, v27, v28
	v_mul_f32_e32 v27, 0x3fb8aa3b, v10
	v_fma_f32 v28, v10, s41, -v27
	v_rndne_f32_e32 v29, v27
	v_fmac_f32_e32 v28, 0x32a5705f, v10
	v_sub_f32_e32 v27, v27, v29
	v_add_f32_e32 v27, v27, v28
	v_cmp_ngt_f32_e32 vcc, s33, v9
	v_exp_f32_e32 v27, v27
	v_cvt_i32_f32_e32 v28, v29
	v_cndmask_b32_e32 v26, 0, v26, vcc
	v_cmp_nlt_f32_e32 vcc, s40, v9
	v_cndmask_b32_e64 v1, 0, v1, s[34:35]
	v_cndmask_b32_e64 v2, 0, v2, s[30:31]
	v_cndmask_b32_e32 v9, v25, v26, vcc
	v_add_f32_e32 v26, v20, v9
	v_cndmask_b32_e64 v20, v20, v26, s[16:17]
	v_ldexp_f32 v26, v27, v28
	v_mul_f32_e32 v27, 0x3fb8aa3b, v11
	v_fma_f32 v28, v11, s41, -v27
	v_rndne_f32_e32 v29, v27
	v_fmac_f32_e32 v28, 0x32a5705f, v11
	v_sub_f32_e32 v27, v27, v29
	v_add_f32_e32 v27, v27, v28
	v_cmp_ngt_f32_e32 vcc, s33, v10
	v_exp_f32_e32 v27, v27
	v_cvt_i32_f32_e32 v28, v29
	v_cndmask_b32_e32 v26, 0, v26, vcc
	v_cmp_nlt_f32_e32 vcc, s40, v10
	v_cndmask_b32_e64 v3, 0, v3, s[28:29]
	v_cndmask_b32_e64 v4, 0, v4, s[26:27]
	;; [unrolled: 17-line block ×7, first 2 shown]
	v_cndmask_b32_e32 v15, v25, v26, vcc
	v_add_f32_e32 v26, v20, v15
	v_cndmask_b32_e64 v20, v20, v26, s[4:5]
	v_ldexp_f32 v26, v27, v28
	v_fma_f32 v27, v17, s41, -v18
	v_rndne_f32_e32 v28, v18
	v_fmac_f32_e32 v27, 0x32a5705f, v17
	v_sub_f32_e32 v18, v18, v28
	v_add_f32_e32 v18, v18, v27
	v_exp_f32_e32 v18, v18
	v_cvt_i32_f32_e32 v27, v28
	v_cmp_ngt_f32_e32 vcc, s33, v16
	v_cndmask_b32_e64 v15, 0, v15, s[4:5]
	v_ldexp_f32 v18, v18, v27
	v_cndmask_b32_e32 v26, 0, v26, vcc
	v_cmp_nlt_f32_e32 vcc, s40, v16
	s_nop 1
	v_cndmask_b32_e32 v16, v25, v26, vcc
	v_cmp_ngt_f32_e32 vcc, s33, v17
	v_add_f32_e32 v26, v20, v16
	v_cndmask_b32_e64 v20, v20, v26, s[2:3]
	v_cndmask_b32_e32 v18, 0, v18, vcc
	v_cmp_nlt_f32_e32 vcc, s40, v17
	v_cndmask_b32_e64 v16, 0, v16, s[2:3]
	s_nop 0
	v_cndmask_b32_e32 v17, v25, v18, vcc
	v_add_f32_e32 v18, v20, v17
	v_cndmask_b32_e64 v18, v20, v18, s[0:1]
	ds_bpermute_b32 v20, v21, v18
	v_cndmask_b32_e64 v17, 0, v17, s[0:1]
	s_waitcnt lgkmcnt(0)
	v_add_f32_e32 v18, v18, v20
	ds_bpermute_b32 v20, v22, v18
	s_waitcnt lgkmcnt(0)
	v_add_f32_e32 v18, v18, v20
	ds_bpermute_b32 v20, v23, v18
	;; [unrolled: 3-line block ×4, first 2 shown]
	s_waitcnt lgkmcnt(0)
	v_add_f32_e32 v18, v18, v19
	v_div_scale_f32 v19, s[40:41], v18, v18, 1.0
	v_rcp_f32_e32 v20, v19
	s_nop 0
	v_fma_f32 v21, -v19, v20, 1.0
	v_fmac_f32_e32 v20, v21, v20
	v_div_scale_f32 v21, vcc, 1.0, v18, 1.0
	v_mul_f32_e32 v22, v21, v20
	v_fma_f32 v23, -v19, v22, v21
	v_fmac_f32_e32 v22, v23, v20
	v_fma_f32 v19, -v19, v22, v21
	v_div_fmas_f32 v19, v19, v20, v22
	v_div_fixup_f32 v18, v19, v18, 1.0
	v_mul_f32_e32 v19, v0, v18
	v_cndmask_b32_e64 v0, v0, v19, s[36:37]
	v_mul_f32_e32 v19, v1, v18
	v_cndmask_b32_e64 v1, v1, v19, s[34:35]
	;; [unrolled: 2-line block ×16, first 2 shown]
	v_mul_f32_e32 v19, v16, v18
	v_mul_f32_e32 v18, v17, v18
	v_cndmask_b32_e64 v16, v16, v19, s[2:3]
	v_cndmask_b32_e64 v17, v17, v18, s[0:1]
.LBB10_42:
	v_mul_lo_u32 v20, v92, s45
	v_mov_b32_e32 v18, s38
	v_mov_b32_e32 v19, s39
	v_ashrrev_i32_e32 v21, 31, v20
	v_lshl_add_u64 v[18:19], v[20:21], 2, v[18:19]
	v_cmp_gt_i32_e32 vcc, s45, v93
	s_and_saveexec_b64 s[0:1], vcc
	s_cbranch_execnz .LBB10_62
; %bb.43:
	s_or_b64 exec, exec, s[0:1]
	v_cmp_gt_i32_e32 vcc, s45, v110
	s_and_saveexec_b64 s[0:1], vcc
	s_cbranch_execnz .LBB10_63
.LBB10_44:
	s_or_b64 exec, exec, s[0:1]
	v_cmp_gt_i32_e32 vcc, s45, v109
	s_and_saveexec_b64 s[0:1], vcc
	s_cbranch_execnz .LBB10_64
.LBB10_45:
	s_or_b64 exec, exec, s[0:1]
	v_cmp_gt_i32_e32 vcc, s45, v108
	s_and_saveexec_b64 s[0:1], vcc
	s_cbranch_execnz .LBB10_65
.LBB10_46:
	s_or_b64 exec, exec, s[0:1]
	v_cmp_gt_i32_e32 vcc, s45, v107
	s_and_saveexec_b64 s[0:1], vcc
	s_cbranch_execnz .LBB10_66
.LBB10_47:
	s_or_b64 exec, exec, s[0:1]
	v_cmp_gt_i32_e32 vcc, s45, v106
	s_and_saveexec_b64 s[0:1], vcc
	s_cbranch_execnz .LBB10_67
.LBB10_48:
	s_or_b64 exec, exec, s[0:1]
	v_cmp_gt_i32_e32 vcc, s45, v105
	s_and_saveexec_b64 s[0:1], vcc
	s_cbranch_execnz .LBB10_68
.LBB10_49:
	s_or_b64 exec, exec, s[0:1]
	v_cmp_gt_i32_e32 vcc, s45, v104
	s_and_saveexec_b64 s[0:1], vcc
	s_cbranch_execnz .LBB10_69
.LBB10_50:
	s_or_b64 exec, exec, s[0:1]
	v_cmp_gt_i32_e32 vcc, s45, v103
	s_and_saveexec_b64 s[0:1], vcc
	s_cbranch_execnz .LBB10_70
.LBB10_51:
	s_or_b64 exec, exec, s[0:1]
	v_cmp_gt_i32_e32 vcc, s45, v102
	s_and_saveexec_b64 s[0:1], vcc
	s_cbranch_execnz .LBB10_71
.LBB10_52:
	s_or_b64 exec, exec, s[0:1]
	v_cmp_gt_i32_e32 vcc, s45, v101
	s_and_saveexec_b64 s[0:1], vcc
	s_cbranch_execnz .LBB10_72
.LBB10_53:
	s_or_b64 exec, exec, s[0:1]
	v_cmp_gt_i32_e32 vcc, s45, v100
	s_and_saveexec_b64 s[0:1], vcc
	s_cbranch_execnz .LBB10_73
.LBB10_54:
	s_or_b64 exec, exec, s[0:1]
	v_cmp_gt_i32_e32 vcc, s45, v99
	s_and_saveexec_b64 s[0:1], vcc
	s_cbranch_execnz .LBB10_74
.LBB10_55:
	s_or_b64 exec, exec, s[0:1]
	v_cmp_gt_i32_e32 vcc, s45, v98
	s_and_saveexec_b64 s[0:1], vcc
	s_cbranch_execnz .LBB10_75
.LBB10_56:
	s_or_b64 exec, exec, s[0:1]
	v_cmp_gt_i32_e32 vcc, s45, v97
	s_and_saveexec_b64 s[0:1], vcc
	s_cbranch_execnz .LBB10_76
.LBB10_57:
	s_or_b64 exec, exec, s[0:1]
	v_cmp_gt_i32_e32 vcc, s45, v96
	s_and_saveexec_b64 s[0:1], vcc
	s_cbranch_execnz .LBB10_77
.LBB10_58:
	s_or_b64 exec, exec, s[0:1]
	v_cmp_gt_i32_e32 vcc, s45, v95
	s_and_saveexec_b64 s[0:1], vcc
	s_cbranch_execnz .LBB10_78
.LBB10_59:
	s_or_b64 exec, exec, s[0:1]
	v_cmp_gt_i32_e32 vcc, s45, v94
	s_and_b64 exec, exec, vcc
	s_cbranch_execz .LBB10_61
.LBB10_60:
	v_mov_b32_e32 v67, 0
	v_lshl_add_u64 v[0:1], v[18:19], 0, v[66:67]
	v_mul_f32_e32 v2, s47, v17
	global_store_dword v[0:1], v2, off offset:2176
.LBB10_61:
	s_endpgm
.LBB10_62:
	v_mov_b32_e32 v67, 0
	v_lshl_add_u64 v[20:21], v[18:19], 0, v[66:67]
	v_mul_f32_e32 v0, s47, v0
	global_store_dword v[20:21], v0, off
	s_or_b64 exec, exec, s[0:1]
	v_cmp_gt_i32_e32 vcc, s45, v110
	s_and_saveexec_b64 s[0:1], vcc
	s_cbranch_execz .LBB10_44
.LBB10_63:
	v_mov_b32_e32 v67, 0
	v_lshl_add_u64 v[20:21], v[18:19], 0, v[66:67]
	v_mul_f32_e32 v0, s47, v1
	global_store_dword v[20:21], v0, off offset:128
	s_or_b64 exec, exec, s[0:1]
	v_cmp_gt_i32_e32 vcc, s45, v109
	s_and_saveexec_b64 s[0:1], vcc
	s_cbranch_execz .LBB10_45
.LBB10_64:
	v_mov_b32_e32 v67, 0
	v_lshl_add_u64 v[0:1], v[18:19], 0, v[66:67]
	v_mul_f32_e32 v2, s47, v2
	global_store_dword v[0:1], v2, off offset:256
	s_or_b64 exec, exec, s[0:1]
	v_cmp_gt_i32_e32 vcc, s45, v108
	s_and_saveexec_b64 s[0:1], vcc
	s_cbranch_execz .LBB10_46
.LBB10_65:
	v_mov_b32_e32 v67, 0
	v_lshl_add_u64 v[0:1], v[18:19], 0, v[66:67]
	v_mul_f32_e32 v2, s47, v3
	global_store_dword v[0:1], v2, off offset:384
	s_or_b64 exec, exec, s[0:1]
	v_cmp_gt_i32_e32 vcc, s45, v107
	s_and_saveexec_b64 s[0:1], vcc
	s_cbranch_execz .LBB10_47
.LBB10_66:
	v_mov_b32_e32 v67, 0
	v_lshl_add_u64 v[0:1], v[18:19], 0, v[66:67]
	v_mul_f32_e32 v2, s47, v4
	global_store_dword v[0:1], v2, off offset:512
	s_or_b64 exec, exec, s[0:1]
	v_cmp_gt_i32_e32 vcc, s45, v106
	s_and_saveexec_b64 s[0:1], vcc
	s_cbranch_execz .LBB10_48
.LBB10_67:
	v_mov_b32_e32 v67, 0
	v_lshl_add_u64 v[0:1], v[18:19], 0, v[66:67]
	v_mul_f32_e32 v2, s47, v5
	global_store_dword v[0:1], v2, off offset:640
	s_or_b64 exec, exec, s[0:1]
	v_cmp_gt_i32_e32 vcc, s45, v105
	s_and_saveexec_b64 s[0:1], vcc
	s_cbranch_execz .LBB10_49
.LBB10_68:
	v_mov_b32_e32 v67, 0
	v_lshl_add_u64 v[0:1], v[18:19], 0, v[66:67]
	v_mul_f32_e32 v2, s47, v6
	global_store_dword v[0:1], v2, off offset:768
	s_or_b64 exec, exec, s[0:1]
	v_cmp_gt_i32_e32 vcc, s45, v104
	s_and_saveexec_b64 s[0:1], vcc
	s_cbranch_execz .LBB10_50
.LBB10_69:
	v_mov_b32_e32 v67, 0
	v_lshl_add_u64 v[0:1], v[18:19], 0, v[66:67]
	v_mul_f32_e32 v2, s47, v7
	global_store_dword v[0:1], v2, off offset:896
	s_or_b64 exec, exec, s[0:1]
	v_cmp_gt_i32_e32 vcc, s45, v103
	s_and_saveexec_b64 s[0:1], vcc
	s_cbranch_execz .LBB10_51
.LBB10_70:
	v_mov_b32_e32 v67, 0
	v_lshl_add_u64 v[0:1], v[18:19], 0, v[66:67]
	v_mul_f32_e32 v2, s47, v8
	global_store_dword v[0:1], v2, off offset:1024
	s_or_b64 exec, exec, s[0:1]
	v_cmp_gt_i32_e32 vcc, s45, v102
	s_and_saveexec_b64 s[0:1], vcc
	s_cbranch_execz .LBB10_52
.LBB10_71:
	v_mov_b32_e32 v67, 0
	v_lshl_add_u64 v[0:1], v[18:19], 0, v[66:67]
	v_mul_f32_e32 v2, s47, v9
	global_store_dword v[0:1], v2, off offset:1152
	s_or_b64 exec, exec, s[0:1]
	v_cmp_gt_i32_e32 vcc, s45, v101
	s_and_saveexec_b64 s[0:1], vcc
	s_cbranch_execz .LBB10_53
.LBB10_72:
	v_mov_b32_e32 v67, 0
	v_lshl_add_u64 v[0:1], v[18:19], 0, v[66:67]
	v_mul_f32_e32 v2, s47, v10
	global_store_dword v[0:1], v2, off offset:1280
	s_or_b64 exec, exec, s[0:1]
	v_cmp_gt_i32_e32 vcc, s45, v100
	s_and_saveexec_b64 s[0:1], vcc
	s_cbranch_execz .LBB10_54
.LBB10_73:
	v_mov_b32_e32 v67, 0
	v_lshl_add_u64 v[0:1], v[18:19], 0, v[66:67]
	v_mul_f32_e32 v2, s47, v11
	global_store_dword v[0:1], v2, off offset:1408
	s_or_b64 exec, exec, s[0:1]
	v_cmp_gt_i32_e32 vcc, s45, v99
	s_and_saveexec_b64 s[0:1], vcc
	s_cbranch_execz .LBB10_55
.LBB10_74:
	v_mov_b32_e32 v67, 0
	v_lshl_add_u64 v[0:1], v[18:19], 0, v[66:67]
	v_mul_f32_e32 v2, s47, v12
	global_store_dword v[0:1], v2, off offset:1536
	s_or_b64 exec, exec, s[0:1]
	v_cmp_gt_i32_e32 vcc, s45, v98
	s_and_saveexec_b64 s[0:1], vcc
	s_cbranch_execz .LBB10_56
.LBB10_75:
	v_mov_b32_e32 v67, 0
	v_lshl_add_u64 v[0:1], v[18:19], 0, v[66:67]
	v_mul_f32_e32 v2, s47, v13
	global_store_dword v[0:1], v2, off offset:1664
	s_or_b64 exec, exec, s[0:1]
	v_cmp_gt_i32_e32 vcc, s45, v97
	s_and_saveexec_b64 s[0:1], vcc
	s_cbranch_execz .LBB10_57
.LBB10_76:
	v_mov_b32_e32 v67, 0
	v_lshl_add_u64 v[0:1], v[18:19], 0, v[66:67]
	v_mul_f32_e32 v2, s47, v14
	global_store_dword v[0:1], v2, off offset:1792
	s_or_b64 exec, exec, s[0:1]
	v_cmp_gt_i32_e32 vcc, s45, v96
	s_and_saveexec_b64 s[0:1], vcc
	s_cbranch_execz .LBB10_58
.LBB10_77:
	v_mov_b32_e32 v67, 0
	v_lshl_add_u64 v[0:1], v[18:19], 0, v[66:67]
	v_mul_f32_e32 v2, s47, v15
	global_store_dword v[0:1], v2, off offset:1920
	s_or_b64 exec, exec, s[0:1]
	v_cmp_gt_i32_e32 vcc, s45, v95
	s_and_saveexec_b64 s[0:1], vcc
	s_cbranch_execz .LBB10_59
.LBB10_78:
	v_mov_b32_e32 v67, 0
	v_lshl_add_u64 v[0:1], v[18:19], 0, v[66:67]
	v_mul_f32_e32 v2, s47, v16
	global_store_dword v[0:1], v2, off offset:2048
	s_or_b64 exec, exec, s[0:1]
	v_cmp_gt_i32_e32 vcc, s45, v94
	s_and_b64 exec, exec, vcc
	s_cbranch_execnz .LBB10_60
	s_branch .LBB10_61
	.section	.rodata,"a",@progbits
	.p2align	6, 0x0
	.amdhsa_kernel _Z13topk_moe_cudaILi576ELb1EEvPKfPfPiS2_iiff15topk_moe_config
		.amdhsa_group_segment_fixed_size 0
		.amdhsa_private_segment_fixed_size 0
		.amdhsa_kernarg_size 312
		.amdhsa_user_sgpr_count 2
		.amdhsa_user_sgpr_dispatch_ptr 0
		.amdhsa_user_sgpr_queue_ptr 0
		.amdhsa_user_sgpr_kernarg_segment_ptr 1
		.amdhsa_user_sgpr_dispatch_id 0
		.amdhsa_user_sgpr_kernarg_preload_length 0
		.amdhsa_user_sgpr_kernarg_preload_offset 0
		.amdhsa_user_sgpr_private_segment_size 0
		.amdhsa_uses_dynamic_stack 0
		.amdhsa_enable_private_segment 0
		.amdhsa_system_sgpr_workgroup_id_x 1
		.amdhsa_system_sgpr_workgroup_id_y 0
		.amdhsa_system_sgpr_workgroup_id_z 0
		.amdhsa_system_sgpr_workgroup_info 0
		.amdhsa_system_vgpr_workitem_id 1
		.amdhsa_next_free_vgpr 117
		.amdhsa_next_free_sgpr 48
		.amdhsa_accum_offset 120
		.amdhsa_reserve_vcc 1
		.amdhsa_float_round_mode_32 0
		.amdhsa_float_round_mode_16_64 0
		.amdhsa_float_denorm_mode_32 3
		.amdhsa_float_denorm_mode_16_64 3
		.amdhsa_dx10_clamp 1
		.amdhsa_ieee_mode 1
		.amdhsa_fp16_overflow 0
		.amdhsa_tg_split 0
		.amdhsa_exception_fp_ieee_invalid_op 0
		.amdhsa_exception_fp_denorm_src 0
		.amdhsa_exception_fp_ieee_div_zero 0
		.amdhsa_exception_fp_ieee_overflow 0
		.amdhsa_exception_fp_ieee_underflow 0
		.amdhsa_exception_fp_ieee_inexact 0
		.amdhsa_exception_int_div_zero 0
	.end_amdhsa_kernel
	.section	.text._Z13topk_moe_cudaILi576ELb1EEvPKfPfPiS2_iiff15topk_moe_config,"axG",@progbits,_Z13topk_moe_cudaILi576ELb1EEvPKfPfPiS2_iiff15topk_moe_config,comdat
.Lfunc_end10:
	.size	_Z13topk_moe_cudaILi576ELb1EEvPKfPfPiS2_iiff15topk_moe_config, .Lfunc_end10-_Z13topk_moe_cudaILi576ELb1EEvPKfPfPiS2_iiff15topk_moe_config
                                        ; -- End function
	.set _Z13topk_moe_cudaILi576ELb1EEvPKfPfPiS2_iiff15topk_moe_config.num_vgpr, 117
	.set _Z13topk_moe_cudaILi576ELb1EEvPKfPfPiS2_iiff15topk_moe_config.num_agpr, 0
	.set _Z13topk_moe_cudaILi576ELb1EEvPKfPfPiS2_iiff15topk_moe_config.numbered_sgpr, 48
	.set _Z13topk_moe_cudaILi576ELb1EEvPKfPfPiS2_iiff15topk_moe_config.num_named_barrier, 0
	.set _Z13topk_moe_cudaILi576ELb1EEvPKfPfPiS2_iiff15topk_moe_config.private_seg_size, 0
	.set _Z13topk_moe_cudaILi576ELb1EEvPKfPfPiS2_iiff15topk_moe_config.uses_vcc, 1
	.set _Z13topk_moe_cudaILi576ELb1EEvPKfPfPiS2_iiff15topk_moe_config.uses_flat_scratch, 0
	.set _Z13topk_moe_cudaILi576ELb1EEvPKfPfPiS2_iiff15topk_moe_config.has_dyn_sized_stack, 0
	.set _Z13topk_moe_cudaILi576ELb1EEvPKfPfPiS2_iiff15topk_moe_config.has_recursion, 0
	.set _Z13topk_moe_cudaILi576ELb1EEvPKfPfPiS2_iiff15topk_moe_config.has_indirect_call, 0
	.section	.AMDGPU.csdata,"",@progbits
; Kernel info:
; codeLenInByte = 12184
; TotalNumSgprs: 54
; NumVgprs: 117
; NumAgprs: 0
; TotalNumVgprs: 117
; ScratchSize: 0
; MemoryBound: 0
; FloatMode: 240
; IeeeMode: 1
; LDSByteSize: 0 bytes/workgroup (compile time only)
; SGPRBlocks: 6
; VGPRBlocks: 14
; NumSGPRsForWavesPerEU: 54
; NumVGPRsForWavesPerEU: 117
; AccumOffset: 120
; Occupancy: 4
; WaveLimiterHint : 1
; COMPUTE_PGM_RSRC2:SCRATCH_EN: 0
; COMPUTE_PGM_RSRC2:USER_SGPR: 2
; COMPUTE_PGM_RSRC2:TRAP_HANDLER: 0
; COMPUTE_PGM_RSRC2:TGID_X_EN: 1
; COMPUTE_PGM_RSRC2:TGID_Y_EN: 0
; COMPUTE_PGM_RSRC2:TGID_Z_EN: 0
; COMPUTE_PGM_RSRC2:TIDIG_COMP_CNT: 1
; COMPUTE_PGM_RSRC3_GFX90A:ACCUM_OFFSET: 29
; COMPUTE_PGM_RSRC3_GFX90A:TG_SPLIT: 0
	.section	.text._Z13topk_moe_cudaILi1ELb0EEvPKfPfPiS2_iiff15topk_moe_config,"axG",@progbits,_Z13topk_moe_cudaILi1ELb0EEvPKfPfPiS2_iiff15topk_moe_config,comdat
	.protected	_Z13topk_moe_cudaILi1ELb0EEvPKfPfPiS2_iiff15topk_moe_config ; -- Begin function _Z13topk_moe_cudaILi1ELb0EEvPKfPfPiS2_iiff15topk_moe_config
	.globl	_Z13topk_moe_cudaILi1ELb0EEvPKfPfPiS2_iiff15topk_moe_config
	.p2align	8
	.type	_Z13topk_moe_cudaILi1ELb0EEvPKfPfPiS2_iiff15topk_moe_config,@function
_Z13topk_moe_cudaILi1ELb0EEvPKfPfPiS2_iiff15topk_moe_config: ; @_Z13topk_moe_cudaILi1ELb0EEvPKfPfPiS2_iiff15topk_moe_config
; %bb.0:
	s_load_dword s3, s[0:1], 0x44
	s_load_dwordx4 s[4:7], s[0:1], 0x20
	v_bfe_u32 v1, v0, 10, 10
	s_waitcnt lgkmcnt(0)
	s_lshr_b32 s3, s3, 16
	s_mul_i32 s2, s2, s3
	v_add_u32_e32 v2, s2, v1
	v_cmp_gt_i32_e32 vcc, s4, v2
	s_and_saveexec_b64 s[2:3], vcc
	s_cbranch_execz .LBB11_41
; %bb.1:
	v_mov_b32_e32 v3, 0
	global_load_ushort v1, v3, s[0:1] offset:48
	global_load_sbyte v5, v3, s[0:1] offset:50
	s_load_dwordx4 s[8:11], s[0:1], 0x0
	s_load_dwordx2 s[2:3], s[0:1], 0x10
	v_and_b32_e32 v4, 0x3ff, v0
	v_ashrrev_i32_e32 v3, 31, v2
	v_cmp_eq_u32_e32 vcc, 0, v4
	v_mov_b32_e32 v8, 0xff800000
	s_waitcnt vmcnt(1)
	v_readfirstlane_b32 s4, v1
	s_and_saveexec_b64 s[0:1], vcc
	s_cbranch_execz .LBB11_3
; %bb.2:
	s_waitcnt lgkmcnt(0)
	v_mov_b32_e32 v6, s8
	v_mov_b32_e32 v7, s9
	v_lshl_add_u64 v[6:7], v[2:3], 2, v[6:7]
	global_load_dword v8, v[6:7], off
.LBB11_3:
	s_or_b64 exec, exec, s[0:1]
	s_waitcnt vmcnt(0)
	v_and_b32_e32 v0, 1, v5
	v_cmp_eq_u32_e64 s[0:1], 1, v0
	s_and_b64 vcc, exec, s[0:1]
	s_cbranch_vccnz .LBB11_9
; %bb.4:
	v_and_b32_e32 v0, 1, v1
	v_cmp_eq_u32_e32 vcc, 0, v0
	s_cbranch_vccz .LBB11_6
; %bb.5:
	v_mbcnt_lo_u32_b32 v1, -1, 0
	v_mbcnt_hi_u32_b32 v1, -1, v1
	v_and_b32_e32 v5, 0x60, v1
	v_add_u32_e32 v5, 32, v5
	v_xor_b32_e32 v6, 16, v1
	v_cmp_lt_i32_e32 vcc, v6, v5
	v_max_f32_e32 v0, v8, v8
	v_max_f32_e32 v0, 0xff800000, v0
	v_cndmask_b32_e32 v6, v1, v6, vcc
	v_lshlrev_b32_e32 v6, 2, v6
	ds_bpermute_b32 v7, v6, v0
	s_waitcnt lgkmcnt(0)
	s_mov_b32 s8, 0x3fb8aa3b
	v_max_f32_e32 v7, v7, v7
	v_max_f32_e32 v0, v0, v7
	v_xor_b32_e32 v7, 8, v1
	v_cmp_lt_i32_e32 vcc, v7, v5
	s_nop 1
	v_cndmask_b32_e32 v7, v1, v7, vcc
	v_lshlrev_b32_e32 v7, 2, v7
	ds_bpermute_b32 v9, v7, v0
	s_waitcnt lgkmcnt(0)
	v_max_f32_e32 v9, v9, v9
	v_max_f32_e32 v0, v0, v9
	v_xor_b32_e32 v9, 4, v1
	v_cmp_lt_i32_e32 vcc, v9, v5
	s_nop 1
	v_cndmask_b32_e32 v9, v1, v9, vcc
	v_lshlrev_b32_e32 v9, 2, v9
	ds_bpermute_b32 v10, v9, v0
	s_waitcnt lgkmcnt(0)
	;; [unrolled: 9-line block ×4, first 2 shown]
	v_max_f32_e32 v5, v5, v5
	v_max_f32_e32 v0, v0, v5
	v_sub_f32_e32 v0, v8, v0
	v_mul_f32_e32 v5, 0x3fb8aa3b, v0
	v_fma_f32 v11, v0, s8, -v5
	v_rndne_f32_e32 v12, v5
	v_fmamk_f32 v11, v0, 0x32a5705f, v11
	v_sub_f32_e32 v5, v5, v12
	v_add_f32_e32 v5, v5, v11
	v_exp_f32_e32 v5, v5
	v_cvt_i32_f32_e32 v11, v12
	s_mov_b32 s8, 0xc2ce8ed0
	v_cmp_ngt_f32_e32 vcc, s8, v0
	s_mov_b32 s8, 0x42b17218
	v_ldexp_f32 v5, v5, v11
	v_cndmask_b32_e32 v5, 0, v5, vcc
	v_mov_b32_e32 v11, 0x7f800000
	v_cmp_nlt_f32_e32 vcc, s8, v0
	s_nop 1
	v_cndmask_b32_e32 v0, v11, v5, vcc
	ds_bpermute_b32 v5, v6, v0
	s_waitcnt lgkmcnt(0)
	v_add_f32_e32 v5, v0, v5
	ds_bpermute_b32 v6, v7, v5
	s_waitcnt lgkmcnt(0)
	v_add_f32_e32 v5, v5, v6
	;; [unrolled: 3-line block ×5, first 2 shown]
	v_div_scale_f32 v5, s[8:9], v1, v1, 1.0
	v_rcp_f32_e32 v6, v5
	v_div_scale_f32 v7, vcc, 1.0, v1, 1.0
	v_fma_f32 v9, -v5, v6, 1.0
	v_fmac_f32_e32 v6, v9, v6
	v_mul_f32_e32 v9, v7, v6
	v_fma_f32 v10, -v5, v9, v7
	v_fmac_f32_e32 v9, v10, v6
	v_fma_f32 v5, -v5, v9, v7
	v_div_fmas_f32 v5, v5, v6, v9
	v_div_fixup_f32 v1, v5, v1, 1.0
	v_mul_f32_e32 v0, v0, v1
	s_cbranch_execz .LBB11_7
	s_branch .LBB11_8
.LBB11_6:
	s_waitcnt lgkmcnt(0)
                                        ; implicit-def: $vgpr0
.LBB11_7:
	v_mul_f32_e32 v0, 0xbfb8aa3b, v8
	s_mov_b32 s8, 0xbfb8aa3b
	v_rndne_f32_e32 v1, v0
	v_sub_f32_e32 v5, v0, v1
	v_fma_f32 v0, v8, s8, -v0
	v_fmamk_f32 v0, v8, 0xb2a5705f, v0
	v_add_f32_e32 v0, v5, v0
	v_exp_f32_e32 v0, v0
	v_cvt_i32_f32_e32 v1, v1
	s_mov_b32 s8, 0x42ce8ed0
	v_cmp_nlt_f32_e32 vcc, s8, v8
	s_mov_b32 s8, 0xc2b17218
	v_ldexp_f32 v0, v0, v1
	v_cndmask_b32_e32 v0, 0, v0, vcc
	v_mov_b32_e32 v1, 0x7f800000
	v_cmp_ngt_f32_e32 vcc, s8, v8
	s_nop 1
	v_cndmask_b32_e32 v0, v1, v0, vcc
	v_add_f32_e32 v0, 1.0, v0
	v_div_scale_f32 v1, s[8:9], v0, v0, 1.0
	v_rcp_f32_e32 v5, v1
	s_nop 0
	v_fma_f32 v6, -v1, v5, 1.0
	v_fmac_f32_e32 v5, v6, v5
	v_div_scale_f32 v6, vcc, 1.0, v0, 1.0
	v_mul_f32_e32 v7, v6, v5
	v_fma_f32 v8, -v1, v7, v6
	v_fmac_f32_e32 v7, v8, v5
	v_fma_f32 v1, -v1, v7, v6
	v_div_fmas_f32 v1, v1, v5, v7
	v_div_fixup_f32 v0, v1, v0, 1.0
.LBB11_8:
	v_mov_b32_e32 v8, v0
.LBB11_9:
	s_lshr_b32 s14, s4, 8
	s_cmp_gt_i32 s5, 0
	s_cbranch_scc1 .LBB11_11
; %bb.10:
	s_bitcmp1_b32 s14, 0
	s_mov_b64 s[12:13], 0
	s_waitcnt lgkmcnt(0)
	s_cselect_b64 s[8:9], -1, 0
	s_branch .LBB11_12
.LBB11_11:
	s_mov_b64 s[12:13], -1
                                        ; implicit-def: $sgpr8_sgpr9
.LBB11_12:
	v_mov_b32_e32 v7, 0
	s_andn2_b64 vcc, exec, s[12:13]
	v_mbcnt_lo_u32_b32 v6, -1, 0
	v_mov_b32_e32 v5, 0
	s_cbranch_vccnz .LBB11_37
; %bb.13:
	s_waitcnt lgkmcnt(0)
	v_mov_b32_e32 v0, s2
	v_mov_b32_e32 v1, s3
	v_mbcnt_hi_u32_b32 v5, -1, v6
	v_lshl_add_u64 v[0:1], v[2:3], 2, v[0:1]
	v_mov_b32_e32 v3, 0xff7fffff
	v_cmp_o_f32_e32 vcc, v8, v8
	v_and_b32_e32 v7, 0x60, v5
	v_add_u32_e32 v7, 32, v7
	v_cndmask_b32_e32 v3, v3, v8, vcc
	v_xor_b32_e32 v8, 16, v5
	v_cmp_lt_i32_e32 vcc, v8, v7
	v_xor_b32_e32 v9, 8, v5
	v_xor_b32_e32 v10, 4, v5
	v_cndmask_b32_e32 v8, v5, v8, vcc
	v_cmp_lt_i32_e32 vcc, v9, v7
	v_xor_b32_e32 v11, 2, v5
	v_xor_b32_e32 v12, 1, v5
	v_cndmask_b32_e32 v9, v5, v9, vcc
	v_cmp_lt_i32_e32 vcc, v10, v7
	s_bitcmp1_b32 s14, 0
	s_mov_b32 s4, 0
	v_cndmask_b32_e32 v10, v5, v10, vcc
	v_cmp_lt_i32_e32 vcc, v11, v7
	s_cselect_b64 s[8:9], -1, 0
	v_lshlrev_b32_e32 v8, 2, v8
	v_cndmask_b32_e32 v11, v5, v11, vcc
	v_cmp_lt_i32_e32 vcc, v12, v7
	v_lshlrev_b32_e32 v9, 2, v9
	v_lshlrev_b32_e32 v10, 2, v10
	v_cndmask_b32_e32 v5, v5, v12, vcc
	v_lshlrev_b32_e32 v11, 2, v11
	v_lshlrev_b32_e32 v12, 2, v5
	v_mov_b32_e32 v7, 0
	v_mov_b32_e32 v13, 0xff800000
	v_mov_b32_e32 v5, 0
	s_branch .LBB11_15
.LBB11_14:                              ;   in Loop: Header=BB11_15 Depth=1
	s_or_b64 exec, exec, s[2:3]
	s_and_b32 s2, s4, 31
	v_cndmask_b32_e32 v3, v3, v13, vcc
	v_cmp_eq_u32_e32 vcc, s2, v4
	s_add_i32 s4, s4, 1
	s_cmp_eq_u32 s5, s4
	v_cndmask_b32_e32 v5, v5, v14, vcc
	v_lshl_add_u64 v[0:1], v[0:1], 0, 4
	s_cbranch_scc1 .LBB11_37
.LBB11_15:                              ; =>This Inner Loop Header: Depth=1
	s_waitcnt lgkmcnt(0)
	ds_bpermute_b32 v17, v8, v3
	ds_bpermute_b32 v18, v8, v4
	s_waitcnt lgkmcnt(1)
	v_cmp_lt_f32_e64 s[12:13], v3, v17
	v_cmp_nlt_f32_e32 vcc, v3, v17
	s_and_saveexec_b64 s[14:15], vcc
	s_cbranch_execz .LBB11_17
; %bb.16:                               ;   in Loop: Header=BB11_15 Depth=1
	v_cmp_eq_f32_e32 vcc, v3, v17
	s_waitcnt lgkmcnt(0)
	v_cmp_lt_i32_e64 s[2:3], v18, v4
	s_and_b64 s[2:3], vcc, s[2:3]
	s_andn2_b64 s[12:13], s[12:13], exec
	s_and_b64 s[2:3], s[2:3], exec
	s_or_b64 s[12:13], s[12:13], s[2:3]
.LBB11_17:                              ;   in Loop: Header=BB11_15 Depth=1
	s_or_b64 exec, exec, s[14:15]
	v_mov_b32_e32 v16, v3
	v_mov_b32_e32 v14, v3
	;; [unrolled: 1-line block ×3, first 2 shown]
	s_and_saveexec_b64 s[2:3], s[12:13]
	s_cbranch_execz .LBB11_19
; %bb.18:                               ;   in Loop: Header=BB11_15 Depth=1
	v_mov_b32_e32 v16, v17
	v_mov_b32_e32 v14, v17
	s_waitcnt lgkmcnt(0)
	v_mov_b32_e32 v15, v18
.LBB11_19:                              ;   in Loop: Header=BB11_15 Depth=1
	s_or_b64 exec, exec, s[2:3]
	ds_bpermute_b32 v17, v9, v16
	s_waitcnt lgkmcnt(1)
	ds_bpermute_b32 v18, v9, v15
	s_waitcnt lgkmcnt(1)
	v_cmp_lt_f32_e64 s[12:13], v14, v17
	v_cmp_nlt_f32_e32 vcc, v14, v17
	s_and_saveexec_b64 s[14:15], vcc
	s_cbranch_execz .LBB11_21
; %bb.20:                               ;   in Loop: Header=BB11_15 Depth=1
	v_cmp_eq_f32_e32 vcc, v14, v17
	s_waitcnt lgkmcnt(0)
	v_cmp_lt_i32_e64 s[2:3], v18, v15
	s_and_b64 s[2:3], vcc, s[2:3]
	s_andn2_b64 s[12:13], s[12:13], exec
	s_and_b64 s[2:3], s[2:3], exec
	s_or_b64 s[12:13], s[12:13], s[2:3]
.LBB11_21:                              ;   in Loop: Header=BB11_15 Depth=1
	s_or_b64 exec, exec, s[14:15]
	s_and_saveexec_b64 s[2:3], s[12:13]
	s_cbranch_execz .LBB11_23
; %bb.22:                               ;   in Loop: Header=BB11_15 Depth=1
	v_mov_b32_e32 v16, v17
	v_mov_b32_e32 v14, v17
	s_waitcnt lgkmcnt(0)
	v_mov_b32_e32 v15, v18
.LBB11_23:                              ;   in Loop: Header=BB11_15 Depth=1
	s_or_b64 exec, exec, s[2:3]
	ds_bpermute_b32 v17, v10, v16
	s_waitcnt lgkmcnt(1)
	ds_bpermute_b32 v18, v10, v15
	s_waitcnt lgkmcnt(1)
	v_cmp_lt_f32_e64 s[12:13], v14, v17
	v_cmp_nlt_f32_e32 vcc, v14, v17
	s_and_saveexec_b64 s[14:15], vcc
	s_cbranch_execz .LBB11_25
; %bb.24:                               ;   in Loop: Header=BB11_15 Depth=1
	v_cmp_eq_f32_e32 vcc, v14, v17
	s_waitcnt lgkmcnt(0)
	v_cmp_lt_i32_e64 s[2:3], v18, v15
	s_and_b64 s[2:3], vcc, s[2:3]
	s_andn2_b64 s[12:13], s[12:13], exec
	s_and_b64 s[2:3], s[2:3], exec
	s_or_b64 s[12:13], s[12:13], s[2:3]
.LBB11_25:                              ;   in Loop: Header=BB11_15 Depth=1
	s_or_b64 exec, exec, s[14:15]
	;; [unrolled: 27-line block ×3, first 2 shown]
	s_and_saveexec_b64 s[2:3], s[12:13]
	s_cbranch_execz .LBB11_31
; %bb.30:                               ;   in Loop: Header=BB11_15 Depth=1
	v_mov_b32_e32 v16, v17
	v_mov_b32_e32 v14, v17
	s_waitcnt lgkmcnt(0)
	v_mov_b32_e32 v15, v18
.LBB11_31:                              ;   in Loop: Header=BB11_15 Depth=1
	s_or_b64 exec, exec, s[2:3]
	ds_bpermute_b32 v16, v12, v16
	ds_bpermute_b32 v17, v12, v15
	s_waitcnt lgkmcnt(1)
	v_cmp_lt_f32_e64 s[12:13], v14, v16
	v_cmp_nlt_f32_e32 vcc, v14, v16
	s_and_saveexec_b64 s[14:15], vcc
	s_cbranch_execz .LBB11_33
; %bb.32:                               ;   in Loop: Header=BB11_15 Depth=1
	v_cmp_eq_f32_e32 vcc, v14, v16
	s_waitcnt lgkmcnt(0)
	v_cmp_lt_i32_e64 s[2:3], v17, v15
	s_and_b64 s[2:3], vcc, s[2:3]
	s_andn2_b64 s[12:13], s[12:13], exec
	s_and_b64 s[2:3], s[2:3], exec
	s_or_b64 s[12:13], s[12:13], s[2:3]
.LBB11_33:                              ;   in Loop: Header=BB11_15 Depth=1
	s_or_b64 exec, exec, s[14:15]
	s_and_saveexec_b64 s[2:3], s[12:13]
	s_cbranch_execz .LBB11_35
; %bb.34:                               ;   in Loop: Header=BB11_15 Depth=1
	v_mov_b32_e32 v14, v16
	s_waitcnt lgkmcnt(0)
	v_mov_b32_e32 v15, v17
.LBB11_35:                              ;   in Loop: Header=BB11_15 Depth=1
	s_or_b64 exec, exec, s[2:3]
	v_and_b32_e32 v16, 31, v15
	v_cmp_eq_u32_e32 vcc, v16, v4
	s_and_saveexec_b64 s[2:3], vcc
	s_cbranch_execz .LBB11_14
; %bb.36:                               ;   in Loop: Header=BB11_15 Depth=1
	v_add_f32_e32 v16, v7, v14
	v_cndmask_b32_e64 v7, v7, v16, s[8:9]
	global_store_dword v[0:1], v15, off
	s_branch .LBB11_14
.LBB11_37:
	s_waitcnt lgkmcnt(0)
	s_and_b64 vcc, exec, s[8:9]
	s_cbranch_vccnz .LBB11_42
; %bb.38:
	s_andn2_b64 vcc, exec, s[0:1]
	v_cmp_gt_i32_e64 s[0:1], s5, v4
	s_cbranch_vccz .LBB11_43
.LBB11_39:
	v_cmp_gt_i32_e32 vcc, s5, v4
	s_and_b64 exec, exec, vcc
	s_cbranch_execz .LBB11_41
.LBB11_40:
	v_mul_lo_u32 v2, v2, s5
	v_mov_b32_e32 v0, s10
	v_mov_b32_e32 v1, s11
	s_waitcnt lgkmcnt(0)
	v_ashrrev_i32_e32 v3, 31, v2
	v_lshl_add_u64 v[0:1], v[2:3], 2, v[0:1]
	v_lshlrev_b32_e32 v2, 2, v4
	v_mov_b32_e32 v3, 0
	v_mul_f32_e32 v5, s7, v5
	v_lshl_add_u64 v[0:1], v[0:1], 0, v[2:3]
	global_store_dword v[0:1], v5, off
.LBB11_41:
	s_endpgm
.LBB11_42:
	v_mbcnt_hi_u32_b32 v0, -1, v6
	v_and_b32_e32 v1, 0x60, v0
	v_add_u32_e32 v1, 32, v1
	v_xor_b32_e32 v3, 16, v0
	v_cmp_lt_i32_e32 vcc, v3, v1
	v_xor_b32_e32 v8, 8, v0
	s_nop 0
	v_cndmask_b32_e32 v3, v0, v3, vcc
	v_lshlrev_b32_e32 v3, 2, v3
	ds_bpermute_b32 v3, v3, v7
	v_cmp_lt_i32_e32 vcc, v8, v1
	s_waitcnt lgkmcnt(0)
	v_add_f32_e32 v3, v7, v3
	v_cndmask_b32_e32 v7, v0, v8, vcc
	v_lshlrev_b32_e32 v7, 2, v7
	ds_bpermute_b32 v7, v7, v3
	v_xor_b32_e32 v8, 4, v0
	v_cmp_lt_i32_e32 vcc, v8, v1
	s_waitcnt lgkmcnt(0)
	v_add_f32_e32 v3, v3, v7
	v_cndmask_b32_e32 v7, v0, v8, vcc
	v_lshlrev_b32_e32 v7, 2, v7
	ds_bpermute_b32 v7, v7, v3
	v_xor_b32_e32 v8, 2, v0
	;; [unrolled: 7-line block ×3, first 2 shown]
	v_cmp_lt_i32_e32 vcc, v8, v1
	v_max_f32_e64 v1, s6, s6
	s_waitcnt lgkmcnt(0)
	v_add_f32_e32 v3, v3, v7
	v_cndmask_b32_e32 v0, v0, v8, vcc
	v_lshlrev_b32_e32 v0, 2, v0
	ds_bpermute_b32 v0, v0, v3
	s_waitcnt lgkmcnt(0)
	v_add_f32_e32 v0, v3, v0
	v_max_f32_e32 v0, v0, v1
	v_div_scale_f32 v1, s[2:3], v0, v0, 1.0
	v_rcp_f32_e32 v3, v1
	v_div_scale_f32 v7, vcc, 1.0, v0, 1.0
	v_fma_f32 v8, -v1, v3, 1.0
	v_fmac_f32_e32 v3, v8, v3
	v_mul_f32_e32 v8, v7, v3
	v_fma_f32 v9, -v1, v8, v7
	v_fmac_f32_e32 v8, v9, v3
	v_fma_f32 v1, -v1, v8, v7
	v_div_fmas_f32 v1, v1, v3, v8
	v_div_fixup_f32 v0, v1, v0, 1.0
	v_mul_f32_e32 v5, v0, v5
	s_andn2_b64 vcc, exec, s[0:1]
	v_cmp_gt_i32_e64 s[0:1], s5, v4
	s_cbranch_vccnz .LBB11_39
.LBB11_43:
	v_max_f32_e32 v0, v5, v5
	v_max_f32_e32 v0, 0xff800000, v0
	v_mov_b32_e32 v1, 0xff800000
	v_cndmask_b32_e64 v0, v1, v0, s[0:1]
	v_mbcnt_hi_u32_b32 v1, -1, v6
	v_and_b32_e32 v3, 0x60, v1
	v_add_u32_e32 v3, 32, v3
	v_xor_b32_e32 v6, 16, v1
	v_cmp_lt_i32_e32 vcc, v6, v3
	s_mov_b32 s2, 0x3fb8aa3b
	s_nop 0
	v_cndmask_b32_e32 v6, v1, v6, vcc
	v_lshlrev_b32_e32 v6, 2, v6
	ds_bpermute_b32 v7, v6, v0
	s_waitcnt lgkmcnt(0)
	v_max_f32_e32 v7, v7, v7
	v_max_f32_e32 v0, v0, v7
	v_xor_b32_e32 v7, 8, v1
	v_cmp_lt_i32_e32 vcc, v7, v3
	s_nop 1
	v_cndmask_b32_e32 v7, v1, v7, vcc
	v_lshlrev_b32_e32 v7, 2, v7
	ds_bpermute_b32 v8, v7, v0
	s_waitcnt lgkmcnt(0)
	v_max_f32_e32 v8, v8, v8
	v_max_f32_e32 v0, v0, v8
	v_xor_b32_e32 v8, 4, v1
	v_cmp_lt_i32_e32 vcc, v8, v3
	;; [unrolled: 9-line block ×4, first 2 shown]
	s_nop 1
	v_cndmask_b32_e32 v1, v1, v10, vcc
	v_lshlrev_b32_e32 v3, 2, v1
	ds_bpermute_b32 v1, v3, v0
	s_waitcnt lgkmcnt(0)
	v_max_f32_e32 v1, v1, v1
	v_max_f32_e32 v0, v0, v1
	v_sub_f32_e32 v0, v5, v0
	v_mul_f32_e32 v1, 0x3fb8aa3b, v0
	v_fma_f32 v5, v0, s2, -v1
	v_rndne_f32_e32 v10, v1
	v_fmamk_f32 v5, v0, 0x32a5705f, v5
	v_sub_f32_e32 v1, v1, v10
	v_add_f32_e32 v1, v1, v5
	v_exp_f32_e32 v1, v1
	v_cvt_i32_f32_e32 v5, v10
	s_mov_b32 s2, 0xc2ce8ed0
	v_cmp_ngt_f32_e32 vcc, s2, v0
	s_mov_b32 s2, 0x42b17218
	v_ldexp_f32 v1, v1, v5
	v_cndmask_b32_e32 v1, 0, v1, vcc
	v_mov_b32_e32 v5, 0x7f800000
	v_cmp_nlt_f32_e32 vcc, s2, v0
	s_nop 1
	v_cndmask_b32_e32 v0, v5, v1, vcc
	v_cndmask_b32_e64 v1, 0, v0, s[0:1]
	ds_bpermute_b32 v5, v6, v1
	s_waitcnt lgkmcnt(0)
	v_add_f32_e32 v1, v1, v5
	ds_bpermute_b32 v5, v7, v1
	s_waitcnt lgkmcnt(0)
	v_add_f32_e32 v1, v1, v5
	;; [unrolled: 3-line block ×4, first 2 shown]
	ds_bpermute_b32 v3, v3, v1
	v_mov_b32_e32 v5, 0
	s_and_saveexec_b64 s[2:3], s[0:1]
	s_cbranch_execz .LBB11_45
; %bb.44:
	s_waitcnt lgkmcnt(0)
	v_add_f32_e32 v1, v1, v3
	v_div_scale_f32 v3, s[0:1], v1, v1, 1.0
	v_rcp_f32_e32 v5, v3
	v_div_scale_f32 v6, vcc, 1.0, v1, 1.0
	v_fma_f32 v7, -v3, v5, 1.0
	v_fmac_f32_e32 v5, v7, v5
	v_mul_f32_e32 v7, v6, v5
	v_fma_f32 v8, -v3, v7, v6
	v_fmac_f32_e32 v7, v8, v5
	v_fma_f32 v3, -v3, v7, v6
	v_div_fmas_f32 v3, v3, v5, v7
	v_div_fixup_f32 v1, v3, v1, 1.0
	v_mul_f32_e32 v5, v0, v1
.LBB11_45:
	s_or_b64 exec, exec, s[2:3]
	v_cmp_gt_i32_e32 vcc, s5, v4
	s_and_b64 exec, exec, vcc
	s_cbranch_execnz .LBB11_40
	s_branch .LBB11_41
	.section	.rodata,"a",@progbits
	.p2align	6, 0x0
	.amdhsa_kernel _Z13topk_moe_cudaILi1ELb0EEvPKfPfPiS2_iiff15topk_moe_config
		.amdhsa_group_segment_fixed_size 0
		.amdhsa_private_segment_fixed_size 0
		.amdhsa_kernarg_size 312
		.amdhsa_user_sgpr_count 2
		.amdhsa_user_sgpr_dispatch_ptr 0
		.amdhsa_user_sgpr_queue_ptr 0
		.amdhsa_user_sgpr_kernarg_segment_ptr 1
		.amdhsa_user_sgpr_dispatch_id 0
		.amdhsa_user_sgpr_kernarg_preload_length 0
		.amdhsa_user_sgpr_kernarg_preload_offset 0
		.amdhsa_user_sgpr_private_segment_size 0
		.amdhsa_uses_dynamic_stack 0
		.amdhsa_enable_private_segment 0
		.amdhsa_system_sgpr_workgroup_id_x 1
		.amdhsa_system_sgpr_workgroup_id_y 0
		.amdhsa_system_sgpr_workgroup_id_z 0
		.amdhsa_system_sgpr_workgroup_info 0
		.amdhsa_system_vgpr_workitem_id 1
		.amdhsa_next_free_vgpr 19
		.amdhsa_next_free_sgpr 16
		.amdhsa_accum_offset 20
		.amdhsa_reserve_vcc 1
		.amdhsa_float_round_mode_32 0
		.amdhsa_float_round_mode_16_64 0
		.amdhsa_float_denorm_mode_32 3
		.amdhsa_float_denorm_mode_16_64 3
		.amdhsa_dx10_clamp 1
		.amdhsa_ieee_mode 1
		.amdhsa_fp16_overflow 0
		.amdhsa_tg_split 0
		.amdhsa_exception_fp_ieee_invalid_op 0
		.amdhsa_exception_fp_denorm_src 0
		.amdhsa_exception_fp_ieee_div_zero 0
		.amdhsa_exception_fp_ieee_overflow 0
		.amdhsa_exception_fp_ieee_underflow 0
		.amdhsa_exception_fp_ieee_inexact 0
		.amdhsa_exception_int_div_zero 0
	.end_amdhsa_kernel
	.section	.text._Z13topk_moe_cudaILi1ELb0EEvPKfPfPiS2_iiff15topk_moe_config,"axG",@progbits,_Z13topk_moe_cudaILi1ELb0EEvPKfPfPiS2_iiff15topk_moe_config,comdat
.Lfunc_end11:
	.size	_Z13topk_moe_cudaILi1ELb0EEvPKfPfPiS2_iiff15topk_moe_config, .Lfunc_end11-_Z13topk_moe_cudaILi1ELb0EEvPKfPfPiS2_iiff15topk_moe_config
                                        ; -- End function
	.set _Z13topk_moe_cudaILi1ELb0EEvPKfPfPiS2_iiff15topk_moe_config.num_vgpr, 19
	.set _Z13topk_moe_cudaILi1ELb0EEvPKfPfPiS2_iiff15topk_moe_config.num_agpr, 0
	.set _Z13topk_moe_cudaILi1ELb0EEvPKfPfPiS2_iiff15topk_moe_config.numbered_sgpr, 16
	.set _Z13topk_moe_cudaILi1ELb0EEvPKfPfPiS2_iiff15topk_moe_config.num_named_barrier, 0
	.set _Z13topk_moe_cudaILi1ELb0EEvPKfPfPiS2_iiff15topk_moe_config.private_seg_size, 0
	.set _Z13topk_moe_cudaILi1ELb0EEvPKfPfPiS2_iiff15topk_moe_config.uses_vcc, 1
	.set _Z13topk_moe_cudaILi1ELb0EEvPKfPfPiS2_iiff15topk_moe_config.uses_flat_scratch, 0
	.set _Z13topk_moe_cudaILi1ELb0EEvPKfPfPiS2_iiff15topk_moe_config.has_dyn_sized_stack, 0
	.set _Z13topk_moe_cudaILi1ELb0EEvPKfPfPiS2_iiff15topk_moe_config.has_recursion, 0
	.set _Z13topk_moe_cudaILi1ELb0EEvPKfPfPiS2_iiff15topk_moe_config.has_indirect_call, 0
	.section	.AMDGPU.csdata,"",@progbits
; Kernel info:
; codeLenInByte = 2692
; TotalNumSgprs: 22
; NumVgprs: 19
; NumAgprs: 0
; TotalNumVgprs: 19
; ScratchSize: 0
; MemoryBound: 0
; FloatMode: 240
; IeeeMode: 1
; LDSByteSize: 0 bytes/workgroup (compile time only)
; SGPRBlocks: 2
; VGPRBlocks: 2
; NumSGPRsForWavesPerEU: 22
; NumVGPRsForWavesPerEU: 19
; AccumOffset: 20
; Occupancy: 8
; WaveLimiterHint : 0
; COMPUTE_PGM_RSRC2:SCRATCH_EN: 0
; COMPUTE_PGM_RSRC2:USER_SGPR: 2
; COMPUTE_PGM_RSRC2:TRAP_HANDLER: 0
; COMPUTE_PGM_RSRC2:TGID_X_EN: 1
; COMPUTE_PGM_RSRC2:TGID_Y_EN: 0
; COMPUTE_PGM_RSRC2:TGID_Z_EN: 0
; COMPUTE_PGM_RSRC2:TIDIG_COMP_CNT: 1
; COMPUTE_PGM_RSRC3_GFX90A:ACCUM_OFFSET: 4
; COMPUTE_PGM_RSRC3_GFX90A:TG_SPLIT: 0
	.section	.text._Z13topk_moe_cudaILi2ELb0EEvPKfPfPiS2_iiff15topk_moe_config,"axG",@progbits,_Z13topk_moe_cudaILi2ELb0EEvPKfPfPiS2_iiff15topk_moe_config,comdat
	.protected	_Z13topk_moe_cudaILi2ELb0EEvPKfPfPiS2_iiff15topk_moe_config ; -- Begin function _Z13topk_moe_cudaILi2ELb0EEvPKfPfPiS2_iiff15topk_moe_config
	.globl	_Z13topk_moe_cudaILi2ELb0EEvPKfPfPiS2_iiff15topk_moe_config
	.p2align	8
	.type	_Z13topk_moe_cudaILi2ELb0EEvPKfPfPiS2_iiff15topk_moe_config,@function
_Z13topk_moe_cudaILi2ELb0EEvPKfPfPiS2_iiff15topk_moe_config: ; @_Z13topk_moe_cudaILi2ELb0EEvPKfPfPiS2_iiff15topk_moe_config
; %bb.0:
	s_load_dword s3, s[0:1], 0x44
	s_load_dwordx4 s[4:7], s[0:1], 0x20
	v_bfe_u32 v1, v0, 10, 10
	s_waitcnt lgkmcnt(0)
	s_lshr_b32 s3, s3, 16
	s_mul_i32 s2, s2, s3
	v_add_u32_e32 v4, s2, v1
	v_cmp_gt_i32_e32 vcc, s4, v4
	s_and_saveexec_b64 s[2:3], vcc
	s_cbranch_execz .LBB12_41
; %bb.1:
	v_mov_b32_e32 v1, 0
	global_load_ushort v6, v1, s[0:1] offset:48
	global_load_sbyte v7, v1, s[0:1] offset:50
	s_load_dwordx4 s[8:11], s[0:1], 0x0
	s_load_dwordx2 s[2:3], s[0:1], 0x10
	v_lshlrev_b32_e32 v2, 1, v4
	v_and_b32_e32 v5, 0x3ff, v0
	v_mov_b32_e32 v8, 0xff800000
	v_ashrrev_i32_e32 v3, 31, v2
	v_cmp_gt_u32_e32 vcc, 2, v5
	v_lshlrev_b32_e32 v0, 2, v5
	s_waitcnt vmcnt(1)
	v_readfirstlane_b32 s4, v6
	s_and_saveexec_b64 s[0:1], vcc
	s_cbranch_execz .LBB12_3
; %bb.2:
	s_waitcnt lgkmcnt(0)
	v_mov_b32_e32 v8, s8
	v_mov_b32_e32 v9, s9
	v_lshl_add_u64 v[8:9], v[2:3], 2, v[8:9]
	v_lshl_add_u64 v[8:9], v[8:9], 0, v[0:1]
	global_load_dword v8, v[8:9], off
.LBB12_3:
	s_or_b64 exec, exec, s[0:1]
	s_waitcnt vmcnt(0)
	v_and_b32_e32 v1, 1, v7
	v_cmp_eq_u32_e64 s[0:1], 1, v1
	s_and_b64 vcc, exec, s[0:1]
	s_cbranch_vccnz .LBB12_9
; %bb.4:
	v_and_b32_e32 v1, 1, v6
	v_cmp_eq_u32_e32 vcc, 0, v1
	s_cbranch_vccz .LBB12_6
; %bb.5:
	v_mbcnt_lo_u32_b32 v6, -1, 0
	v_mbcnt_hi_u32_b32 v6, -1, v6
	v_and_b32_e32 v7, 0x60, v6
	v_add_u32_e32 v7, 32, v7
	v_xor_b32_e32 v9, 16, v6
	v_cmp_lt_i32_e32 vcc, v9, v7
	v_max_f32_e32 v1, v8, v8
	v_max_f32_e32 v1, 0xff800000, v1
	v_cndmask_b32_e32 v9, v6, v9, vcc
	v_lshlrev_b32_e32 v9, 2, v9
	ds_bpermute_b32 v10, v9, v1
	s_waitcnt lgkmcnt(0)
	s_mov_b32 s8, 0x3fb8aa3b
	v_max_f32_e32 v10, v10, v10
	v_max_f32_e32 v1, v1, v10
	v_xor_b32_e32 v10, 8, v6
	v_cmp_lt_i32_e32 vcc, v10, v7
	s_nop 1
	v_cndmask_b32_e32 v10, v6, v10, vcc
	v_lshlrev_b32_e32 v10, 2, v10
	ds_bpermute_b32 v11, v10, v1
	s_waitcnt lgkmcnt(0)
	v_max_f32_e32 v11, v11, v11
	v_max_f32_e32 v1, v1, v11
	v_xor_b32_e32 v11, 4, v6
	v_cmp_lt_i32_e32 vcc, v11, v7
	s_nop 1
	v_cndmask_b32_e32 v11, v6, v11, vcc
	v_lshlrev_b32_e32 v11, 2, v11
	ds_bpermute_b32 v12, v11, v1
	s_waitcnt lgkmcnt(0)
	;; [unrolled: 9-line block ×4, first 2 shown]
	v_max_f32_e32 v7, v7, v7
	v_max_f32_e32 v1, v1, v7
	v_sub_f32_e32 v1, v8, v1
	v_mul_f32_e32 v7, 0x3fb8aa3b, v1
	v_fma_f32 v13, v1, s8, -v7
	v_rndne_f32_e32 v14, v7
	v_fmamk_f32 v13, v1, 0x32a5705f, v13
	v_sub_f32_e32 v7, v7, v14
	v_add_f32_e32 v7, v7, v13
	v_exp_f32_e32 v7, v7
	v_cvt_i32_f32_e32 v13, v14
	s_mov_b32 s8, 0xc2ce8ed0
	v_cmp_ngt_f32_e32 vcc, s8, v1
	s_mov_b32 s8, 0x42b17218
	v_ldexp_f32 v7, v7, v13
	v_cndmask_b32_e32 v7, 0, v7, vcc
	v_mov_b32_e32 v13, 0x7f800000
	v_cmp_nlt_f32_e32 vcc, s8, v1
	s_nop 1
	v_cndmask_b32_e32 v1, v13, v7, vcc
	ds_bpermute_b32 v7, v9, v1
	s_waitcnt lgkmcnt(0)
	v_add_f32_e32 v7, v1, v7
	ds_bpermute_b32 v9, v10, v7
	s_waitcnt lgkmcnt(0)
	v_add_f32_e32 v7, v7, v9
	;; [unrolled: 3-line block ×5, first 2 shown]
	v_div_scale_f32 v7, s[8:9], v6, v6, 1.0
	v_rcp_f32_e32 v9, v7
	v_div_scale_f32 v10, vcc, 1.0, v6, 1.0
	v_fma_f32 v11, -v7, v9, 1.0
	v_fmac_f32_e32 v9, v11, v9
	v_mul_f32_e32 v11, v10, v9
	v_fma_f32 v12, -v7, v11, v10
	v_fmac_f32_e32 v11, v12, v9
	v_fma_f32 v7, -v7, v11, v10
	v_div_fmas_f32 v7, v7, v9, v11
	v_div_fixup_f32 v6, v7, v6, 1.0
	v_mul_f32_e32 v1, v1, v6
	s_cbranch_execz .LBB12_7
	s_branch .LBB12_8
.LBB12_6:
	s_waitcnt lgkmcnt(0)
                                        ; implicit-def: $vgpr1
.LBB12_7:
	v_mul_f32_e32 v1, 0xbfb8aa3b, v8
	s_mov_b32 s8, 0xbfb8aa3b
	v_rndne_f32_e32 v6, v1
	v_sub_f32_e32 v7, v1, v6
	v_fma_f32 v1, v8, s8, -v1
	v_fmamk_f32 v1, v8, 0xb2a5705f, v1
	v_add_f32_e32 v1, v7, v1
	v_exp_f32_e32 v1, v1
	v_cvt_i32_f32_e32 v6, v6
	s_mov_b32 s8, 0x42ce8ed0
	v_cmp_nlt_f32_e32 vcc, s8, v8
	s_mov_b32 s8, 0xc2b17218
	v_ldexp_f32 v1, v1, v6
	v_cndmask_b32_e32 v1, 0, v1, vcc
	v_mov_b32_e32 v6, 0x7f800000
	v_cmp_ngt_f32_e32 vcc, s8, v8
	s_nop 1
	v_cndmask_b32_e32 v1, v6, v1, vcc
	v_add_f32_e32 v1, 1.0, v1
	v_div_scale_f32 v6, s[8:9], v1, v1, 1.0
	v_rcp_f32_e32 v7, v6
	s_nop 0
	v_fma_f32 v8, -v6, v7, 1.0
	v_fmac_f32_e32 v7, v8, v7
	v_div_scale_f32 v8, vcc, 1.0, v1, 1.0
	v_mul_f32_e32 v9, v8, v7
	v_fma_f32 v10, -v6, v9, v8
	v_fmac_f32_e32 v9, v10, v7
	v_fma_f32 v6, -v6, v9, v8
	v_div_fmas_f32 v6, v6, v7, v9
	v_div_fixup_f32 v1, v6, v1, 1.0
.LBB12_8:
	v_mov_b32_e32 v8, v1
.LBB12_9:
	s_lshr_b32 s14, s4, 8
	s_cmp_gt_i32 s5, 0
	s_cbranch_scc1 .LBB12_11
; %bb.10:
	s_bitcmp1_b32 s14, 0
	s_mov_b64 s[12:13], 0
	s_waitcnt lgkmcnt(0)
	s_cselect_b64 s[8:9], -1, 0
	s_branch .LBB12_12
.LBB12_11:
	s_mov_b64 s[12:13], -1
                                        ; implicit-def: $sgpr8_sgpr9
.LBB12_12:
	v_mov_b32_e32 v7, 0
	s_andn2_b64 vcc, exec, s[12:13]
	v_mbcnt_lo_u32_b32 v6, -1, 0
	v_mov_b32_e32 v1, 0
	s_cbranch_vccnz .LBB12_37
; %bb.13:
	v_mov_b32_e32 v1, 0xff7fffff
	v_cmp_o_f32_e32 vcc, v8, v8
	s_waitcnt lgkmcnt(0)
	v_mov_b32_e32 v10, s2
	v_mov_b32_e32 v11, s3
	v_cndmask_b32_e32 v8, v1, v8, vcc
	v_mbcnt_hi_u32_b32 v1, -1, v6
	v_and_b32_e32 v7, 0x60, v1
	v_add_u32_e32 v7, 32, v7
	v_xor_b32_e32 v9, 16, v1
	v_lshl_add_u64 v[2:3], v[2:3], 2, v[10:11]
	v_cmp_lt_i32_e32 vcc, v9, v7
	v_xor_b32_e32 v10, 8, v1
	v_xor_b32_e32 v11, 4, v1
	v_cndmask_b32_e32 v9, v1, v9, vcc
	v_cmp_lt_i32_e32 vcc, v10, v7
	v_xor_b32_e32 v12, 2, v1
	v_xor_b32_e32 v13, 1, v1
	v_cndmask_b32_e32 v10, v1, v10, vcc
	v_cmp_lt_i32_e32 vcc, v11, v7
	s_bitcmp1_b32 s14, 0
	s_mov_b32 s4, 0
	v_cndmask_b32_e32 v11, v1, v11, vcc
	v_cmp_lt_i32_e32 vcc, v12, v7
	s_cselect_b64 s[8:9], -1, 0
	v_lshlrev_b32_e32 v9, 2, v9
	v_cndmask_b32_e32 v12, v1, v12, vcc
	v_cmp_lt_i32_e32 vcc, v13, v7
	v_lshlrev_b32_e32 v10, 2, v10
	v_lshlrev_b32_e32 v11, 2, v11
	v_cndmask_b32_e32 v1, v1, v13, vcc
	v_lshlrev_b32_e32 v12, 2, v12
	v_lshlrev_b32_e32 v13, 2, v1
	v_mov_b32_e32 v7, 0
	v_mov_b32_e32 v14, 0xff800000
	v_mov_b32_e32 v1, 0
	s_branch .LBB12_15
.LBB12_14:                              ;   in Loop: Header=BB12_15 Depth=1
	s_or_b64 exec, exec, s[2:3]
	s_and_b32 s2, s4, 31
	v_cndmask_b32_e32 v8, v8, v14, vcc
	v_cmp_eq_u32_e32 vcc, s2, v5
	s_add_i32 s4, s4, 1
	s_cmp_eq_u32 s5, s4
	v_cndmask_b32_e32 v1, v1, v15, vcc
	v_lshl_add_u64 v[2:3], v[2:3], 0, 4
	s_cbranch_scc1 .LBB12_37
.LBB12_15:                              ; =>This Inner Loop Header: Depth=1
	s_waitcnt lgkmcnt(0)
	ds_bpermute_b32 v18, v9, v8
	ds_bpermute_b32 v19, v9, v5
	s_waitcnt lgkmcnt(1)
	v_cmp_lt_f32_e64 s[12:13], v8, v18
	v_cmp_nlt_f32_e32 vcc, v8, v18
	s_and_saveexec_b64 s[14:15], vcc
	s_cbranch_execz .LBB12_17
; %bb.16:                               ;   in Loop: Header=BB12_15 Depth=1
	v_cmp_eq_f32_e32 vcc, v8, v18
	s_waitcnt lgkmcnt(0)
	v_cmp_lt_i32_e64 s[2:3], v19, v5
	s_and_b64 s[2:3], vcc, s[2:3]
	s_andn2_b64 s[12:13], s[12:13], exec
	s_and_b64 s[2:3], s[2:3], exec
	s_or_b64 s[12:13], s[12:13], s[2:3]
.LBB12_17:                              ;   in Loop: Header=BB12_15 Depth=1
	s_or_b64 exec, exec, s[14:15]
	v_mov_b32_e32 v17, v8
	v_mov_b32_e32 v15, v8
	;; [unrolled: 1-line block ×3, first 2 shown]
	s_and_saveexec_b64 s[2:3], s[12:13]
	s_cbranch_execz .LBB12_19
; %bb.18:                               ;   in Loop: Header=BB12_15 Depth=1
	v_mov_b32_e32 v17, v18
	v_mov_b32_e32 v15, v18
	s_waitcnt lgkmcnt(0)
	v_mov_b32_e32 v16, v19
.LBB12_19:                              ;   in Loop: Header=BB12_15 Depth=1
	s_or_b64 exec, exec, s[2:3]
	ds_bpermute_b32 v18, v10, v17
	s_waitcnt lgkmcnt(1)
	ds_bpermute_b32 v19, v10, v16
	s_waitcnt lgkmcnt(1)
	v_cmp_lt_f32_e64 s[12:13], v15, v18
	v_cmp_nlt_f32_e32 vcc, v15, v18
	s_and_saveexec_b64 s[14:15], vcc
	s_cbranch_execz .LBB12_21
; %bb.20:                               ;   in Loop: Header=BB12_15 Depth=1
	v_cmp_eq_f32_e32 vcc, v15, v18
	s_waitcnt lgkmcnt(0)
	v_cmp_lt_i32_e64 s[2:3], v19, v16
	s_and_b64 s[2:3], vcc, s[2:3]
	s_andn2_b64 s[12:13], s[12:13], exec
	s_and_b64 s[2:3], s[2:3], exec
	s_or_b64 s[12:13], s[12:13], s[2:3]
.LBB12_21:                              ;   in Loop: Header=BB12_15 Depth=1
	s_or_b64 exec, exec, s[14:15]
	s_and_saveexec_b64 s[2:3], s[12:13]
	s_cbranch_execz .LBB12_23
; %bb.22:                               ;   in Loop: Header=BB12_15 Depth=1
	v_mov_b32_e32 v17, v18
	v_mov_b32_e32 v15, v18
	s_waitcnt lgkmcnt(0)
	v_mov_b32_e32 v16, v19
.LBB12_23:                              ;   in Loop: Header=BB12_15 Depth=1
	s_or_b64 exec, exec, s[2:3]
	ds_bpermute_b32 v18, v11, v17
	s_waitcnt lgkmcnt(1)
	ds_bpermute_b32 v19, v11, v16
	s_waitcnt lgkmcnt(1)
	v_cmp_lt_f32_e64 s[12:13], v15, v18
	v_cmp_nlt_f32_e32 vcc, v15, v18
	s_and_saveexec_b64 s[14:15], vcc
	s_cbranch_execz .LBB12_25
; %bb.24:                               ;   in Loop: Header=BB12_15 Depth=1
	v_cmp_eq_f32_e32 vcc, v15, v18
	s_waitcnt lgkmcnt(0)
	v_cmp_lt_i32_e64 s[2:3], v19, v16
	s_and_b64 s[2:3], vcc, s[2:3]
	s_andn2_b64 s[12:13], s[12:13], exec
	s_and_b64 s[2:3], s[2:3], exec
	s_or_b64 s[12:13], s[12:13], s[2:3]
.LBB12_25:                              ;   in Loop: Header=BB12_15 Depth=1
	s_or_b64 exec, exec, s[14:15]
	;; [unrolled: 27-line block ×3, first 2 shown]
	s_and_saveexec_b64 s[2:3], s[12:13]
	s_cbranch_execz .LBB12_31
; %bb.30:                               ;   in Loop: Header=BB12_15 Depth=1
	v_mov_b32_e32 v17, v18
	v_mov_b32_e32 v15, v18
	s_waitcnt lgkmcnt(0)
	v_mov_b32_e32 v16, v19
.LBB12_31:                              ;   in Loop: Header=BB12_15 Depth=1
	s_or_b64 exec, exec, s[2:3]
	ds_bpermute_b32 v17, v13, v17
	ds_bpermute_b32 v18, v13, v16
	s_waitcnt lgkmcnt(1)
	v_cmp_lt_f32_e64 s[12:13], v15, v17
	v_cmp_nlt_f32_e32 vcc, v15, v17
	s_and_saveexec_b64 s[14:15], vcc
	s_cbranch_execz .LBB12_33
; %bb.32:                               ;   in Loop: Header=BB12_15 Depth=1
	v_cmp_eq_f32_e32 vcc, v15, v17
	s_waitcnt lgkmcnt(0)
	v_cmp_lt_i32_e64 s[2:3], v18, v16
	s_and_b64 s[2:3], vcc, s[2:3]
	s_andn2_b64 s[12:13], s[12:13], exec
	s_and_b64 s[2:3], s[2:3], exec
	s_or_b64 s[12:13], s[12:13], s[2:3]
.LBB12_33:                              ;   in Loop: Header=BB12_15 Depth=1
	s_or_b64 exec, exec, s[14:15]
	s_and_saveexec_b64 s[2:3], s[12:13]
	s_cbranch_execz .LBB12_35
; %bb.34:                               ;   in Loop: Header=BB12_15 Depth=1
	v_mov_b32_e32 v15, v17
	s_waitcnt lgkmcnt(0)
	v_mov_b32_e32 v16, v18
.LBB12_35:                              ;   in Loop: Header=BB12_15 Depth=1
	s_or_b64 exec, exec, s[2:3]
	v_and_b32_e32 v17, 31, v16
	v_cmp_eq_u32_e32 vcc, v17, v5
	s_and_saveexec_b64 s[2:3], vcc
	s_cbranch_execz .LBB12_14
; %bb.36:                               ;   in Loop: Header=BB12_15 Depth=1
	v_add_f32_e32 v17, v7, v15
	v_cndmask_b32_e64 v7, v7, v17, s[8:9]
	global_store_dword v[2:3], v16, off
	s_branch .LBB12_14
.LBB12_37:
	s_waitcnt lgkmcnt(0)
	s_and_b64 vcc, exec, s[8:9]
	s_cbranch_vccnz .LBB12_42
; %bb.38:
	s_andn2_b64 vcc, exec, s[0:1]
	v_cmp_gt_i32_e64 s[0:1], s5, v5
	s_cbranch_vccz .LBB12_43
.LBB12_39:
	v_cmp_gt_i32_e32 vcc, s5, v5
	s_and_b64 exec, exec, vcc
	s_cbranch_execz .LBB12_41
.LBB12_40:
	v_mul_lo_u32 v4, v4, s5
	v_mov_b32_e32 v2, s10
	v_mov_b32_e32 v3, s11
	v_ashrrev_i32_e32 v5, 31, v4
	v_lshl_add_u64 v[2:3], v[4:5], 2, v[2:3]
	v_mul_f32_e32 v4, s7, v1
	v_mov_b32_e32 v1, 0
	v_lshl_add_u64 v[0:1], v[2:3], 0, v[0:1]
	global_store_dword v[0:1], v4, off
.LBB12_41:
	s_endpgm
.LBB12_42:
	v_mbcnt_hi_u32_b32 v2, -1, v6
	v_and_b32_e32 v3, 0x60, v2
	v_add_u32_e32 v3, 32, v3
	v_xor_b32_e32 v8, 16, v2
	v_cmp_lt_i32_e32 vcc, v8, v3
	v_xor_b32_e32 v9, 8, v2
	s_nop 0
	v_cndmask_b32_e32 v8, v2, v8, vcc
	v_lshlrev_b32_e32 v8, 2, v8
	ds_bpermute_b32 v8, v8, v7
	v_cmp_lt_i32_e32 vcc, v9, v3
	s_waitcnt lgkmcnt(0)
	v_add_f32_e32 v7, v7, v8
	v_cndmask_b32_e32 v8, v2, v9, vcc
	v_lshlrev_b32_e32 v8, 2, v8
	ds_bpermute_b32 v8, v8, v7
	v_xor_b32_e32 v9, 4, v2
	v_cmp_lt_i32_e32 vcc, v9, v3
	s_waitcnt lgkmcnt(0)
	v_add_f32_e32 v7, v7, v8
	v_cndmask_b32_e32 v8, v2, v9, vcc
	v_lshlrev_b32_e32 v8, 2, v8
	ds_bpermute_b32 v8, v8, v7
	v_xor_b32_e32 v9, 2, v2
	;; [unrolled: 7-line block ×3, first 2 shown]
	v_cmp_lt_i32_e32 vcc, v9, v3
	v_max_f32_e64 v3, s6, s6
	s_waitcnt lgkmcnt(0)
	v_add_f32_e32 v7, v7, v8
	v_cndmask_b32_e32 v2, v2, v9, vcc
	v_lshlrev_b32_e32 v2, 2, v2
	ds_bpermute_b32 v2, v2, v7
	s_waitcnt lgkmcnt(0)
	v_add_f32_e32 v2, v7, v2
	v_max_f32_e32 v2, v2, v3
	v_div_scale_f32 v3, s[2:3], v2, v2, 1.0
	v_rcp_f32_e32 v7, v3
	v_div_scale_f32 v8, vcc, 1.0, v2, 1.0
	v_fma_f32 v9, -v3, v7, 1.0
	v_fmac_f32_e32 v7, v9, v7
	v_mul_f32_e32 v9, v8, v7
	v_fma_f32 v10, -v3, v9, v8
	v_fmac_f32_e32 v9, v10, v7
	v_fma_f32 v3, -v3, v9, v8
	v_div_fmas_f32 v3, v3, v7, v9
	v_div_fixup_f32 v2, v3, v2, 1.0
	v_mul_f32_e32 v1, v2, v1
	s_andn2_b64 vcc, exec, s[0:1]
	v_cmp_gt_i32_e64 s[0:1], s5, v5
	s_cbranch_vccnz .LBB12_39
.LBB12_43:
	v_max_f32_e32 v2, v1, v1
	v_max_f32_e32 v2, 0xff800000, v2
	v_mov_b32_e32 v3, 0xff800000
	v_cndmask_b32_e64 v2, v3, v2, s[0:1]
	v_mbcnt_hi_u32_b32 v3, -1, v6
	v_and_b32_e32 v6, 0x60, v3
	v_add_u32_e32 v6, 32, v6
	v_xor_b32_e32 v7, 16, v3
	v_cmp_lt_i32_e32 vcc, v7, v6
	s_mov_b32 s2, 0x3fb8aa3b
	s_nop 0
	v_cndmask_b32_e32 v7, v3, v7, vcc
	v_lshlrev_b32_e32 v7, 2, v7
	ds_bpermute_b32 v8, v7, v2
	s_waitcnt lgkmcnt(0)
	v_max_f32_e32 v8, v8, v8
	v_max_f32_e32 v2, v2, v8
	v_xor_b32_e32 v8, 8, v3
	v_cmp_lt_i32_e32 vcc, v8, v6
	s_nop 1
	v_cndmask_b32_e32 v8, v3, v8, vcc
	v_lshlrev_b32_e32 v8, 2, v8
	ds_bpermute_b32 v9, v8, v2
	s_waitcnt lgkmcnt(0)
	v_max_f32_e32 v9, v9, v9
	v_max_f32_e32 v2, v2, v9
	v_xor_b32_e32 v9, 4, v3
	v_cmp_lt_i32_e32 vcc, v9, v6
	;; [unrolled: 9-line block ×4, first 2 shown]
	s_nop 1
	v_cndmask_b32_e32 v3, v3, v11, vcc
	v_lshlrev_b32_e32 v6, 2, v3
	ds_bpermute_b32 v3, v6, v2
	s_waitcnt lgkmcnt(0)
	v_max_f32_e32 v3, v3, v3
	v_max_f32_e32 v2, v2, v3
	v_sub_f32_e32 v1, v1, v2
	v_mul_f32_e32 v2, 0x3fb8aa3b, v1
	v_fma_f32 v3, v1, s2, -v2
	v_rndne_f32_e32 v11, v2
	v_fmamk_f32 v3, v1, 0x32a5705f, v3
	v_sub_f32_e32 v2, v2, v11
	v_add_f32_e32 v2, v2, v3
	v_exp_f32_e32 v2, v2
	v_cvt_i32_f32_e32 v3, v11
	s_mov_b32 s2, 0xc2ce8ed0
	v_cmp_ngt_f32_e32 vcc, s2, v1
	s_mov_b32 s2, 0x42b17218
	v_ldexp_f32 v2, v2, v3
	v_cndmask_b32_e32 v2, 0, v2, vcc
	v_mov_b32_e32 v3, 0x7f800000
	v_cmp_nlt_f32_e32 vcc, s2, v1
	s_nop 1
	v_cndmask_b32_e32 v2, v3, v2, vcc
	v_cndmask_b32_e64 v1, 0, v2, s[0:1]
	ds_bpermute_b32 v3, v7, v1
	s_waitcnt lgkmcnt(0)
	v_add_f32_e32 v1, v1, v3
	ds_bpermute_b32 v3, v8, v1
	s_waitcnt lgkmcnt(0)
	v_add_f32_e32 v1, v1, v3
	;; [unrolled: 3-line block ×4, first 2 shown]
	ds_bpermute_b32 v6, v6, v3
	v_mov_b32_e32 v1, 0
	s_and_saveexec_b64 s[2:3], s[0:1]
	s_cbranch_execz .LBB12_45
; %bb.44:
	s_waitcnt lgkmcnt(0)
	v_add_f32_e32 v1, v3, v6
	v_div_scale_f32 v3, s[0:1], v1, v1, 1.0
	v_rcp_f32_e32 v6, v3
	v_div_scale_f32 v7, vcc, 1.0, v1, 1.0
	v_fma_f32 v8, -v3, v6, 1.0
	v_fmac_f32_e32 v6, v8, v6
	v_mul_f32_e32 v8, v7, v6
	v_fma_f32 v9, -v3, v8, v7
	v_fmac_f32_e32 v8, v9, v6
	v_fma_f32 v3, -v3, v8, v7
	v_div_fmas_f32 v3, v3, v6, v8
	v_div_fixup_f32 v1, v3, v1, 1.0
	v_mul_f32_e32 v1, v2, v1
.LBB12_45:
	s_or_b64 exec, exec, s[2:3]
	v_cmp_gt_i32_e32 vcc, s5, v5
	s_and_b64 exec, exec, vcc
	s_cbranch_execnz .LBB12_40
	s_branch .LBB12_41
	.section	.rodata,"a",@progbits
	.p2align	6, 0x0
	.amdhsa_kernel _Z13topk_moe_cudaILi2ELb0EEvPKfPfPiS2_iiff15topk_moe_config
		.amdhsa_group_segment_fixed_size 0
		.amdhsa_private_segment_fixed_size 0
		.amdhsa_kernarg_size 312
		.amdhsa_user_sgpr_count 2
		.amdhsa_user_sgpr_dispatch_ptr 0
		.amdhsa_user_sgpr_queue_ptr 0
		.amdhsa_user_sgpr_kernarg_segment_ptr 1
		.amdhsa_user_sgpr_dispatch_id 0
		.amdhsa_user_sgpr_kernarg_preload_length 0
		.amdhsa_user_sgpr_kernarg_preload_offset 0
		.amdhsa_user_sgpr_private_segment_size 0
		.amdhsa_uses_dynamic_stack 0
		.amdhsa_enable_private_segment 0
		.amdhsa_system_sgpr_workgroup_id_x 1
		.amdhsa_system_sgpr_workgroup_id_y 0
		.amdhsa_system_sgpr_workgroup_id_z 0
		.amdhsa_system_sgpr_workgroup_info 0
		.amdhsa_system_vgpr_workitem_id 1
		.amdhsa_next_free_vgpr 20
		.amdhsa_next_free_sgpr 16
		.amdhsa_accum_offset 20
		.amdhsa_reserve_vcc 1
		.amdhsa_float_round_mode_32 0
		.amdhsa_float_round_mode_16_64 0
		.amdhsa_float_denorm_mode_32 3
		.amdhsa_float_denorm_mode_16_64 3
		.amdhsa_dx10_clamp 1
		.amdhsa_ieee_mode 1
		.amdhsa_fp16_overflow 0
		.amdhsa_tg_split 0
		.amdhsa_exception_fp_ieee_invalid_op 0
		.amdhsa_exception_fp_denorm_src 0
		.amdhsa_exception_fp_ieee_div_zero 0
		.amdhsa_exception_fp_ieee_overflow 0
		.amdhsa_exception_fp_ieee_underflow 0
		.amdhsa_exception_fp_ieee_inexact 0
		.amdhsa_exception_int_div_zero 0
	.end_amdhsa_kernel
	.section	.text._Z13topk_moe_cudaILi2ELb0EEvPKfPfPiS2_iiff15topk_moe_config,"axG",@progbits,_Z13topk_moe_cudaILi2ELb0EEvPKfPfPiS2_iiff15topk_moe_config,comdat
.Lfunc_end12:
	.size	_Z13topk_moe_cudaILi2ELb0EEvPKfPfPiS2_iiff15topk_moe_config, .Lfunc_end12-_Z13topk_moe_cudaILi2ELb0EEvPKfPfPiS2_iiff15topk_moe_config
                                        ; -- End function
	.set _Z13topk_moe_cudaILi2ELb0EEvPKfPfPiS2_iiff15topk_moe_config.num_vgpr, 20
	.set _Z13topk_moe_cudaILi2ELb0EEvPKfPfPiS2_iiff15topk_moe_config.num_agpr, 0
	.set _Z13topk_moe_cudaILi2ELb0EEvPKfPfPiS2_iiff15topk_moe_config.numbered_sgpr, 16
	.set _Z13topk_moe_cudaILi2ELb0EEvPKfPfPiS2_iiff15topk_moe_config.num_named_barrier, 0
	.set _Z13topk_moe_cudaILi2ELb0EEvPKfPfPiS2_iiff15topk_moe_config.private_seg_size, 0
	.set _Z13topk_moe_cudaILi2ELb0EEvPKfPfPiS2_iiff15topk_moe_config.uses_vcc, 1
	.set _Z13topk_moe_cudaILi2ELb0EEvPKfPfPiS2_iiff15topk_moe_config.uses_flat_scratch, 0
	.set _Z13topk_moe_cudaILi2ELb0EEvPKfPfPiS2_iiff15topk_moe_config.has_dyn_sized_stack, 0
	.set _Z13topk_moe_cudaILi2ELb0EEvPKfPfPiS2_iiff15topk_moe_config.has_recursion, 0
	.set _Z13topk_moe_cudaILi2ELb0EEvPKfPfPiS2_iiff15topk_moe_config.has_indirect_call, 0
	.section	.AMDGPU.csdata,"",@progbits
; Kernel info:
; codeLenInByte = 2700
; TotalNumSgprs: 22
; NumVgprs: 20
; NumAgprs: 0
; TotalNumVgprs: 20
; ScratchSize: 0
; MemoryBound: 0
; FloatMode: 240
; IeeeMode: 1
; LDSByteSize: 0 bytes/workgroup (compile time only)
; SGPRBlocks: 2
; VGPRBlocks: 2
; NumSGPRsForWavesPerEU: 22
; NumVGPRsForWavesPerEU: 20
; AccumOffset: 20
; Occupancy: 8
; WaveLimiterHint : 0
; COMPUTE_PGM_RSRC2:SCRATCH_EN: 0
; COMPUTE_PGM_RSRC2:USER_SGPR: 2
; COMPUTE_PGM_RSRC2:TRAP_HANDLER: 0
; COMPUTE_PGM_RSRC2:TGID_X_EN: 1
; COMPUTE_PGM_RSRC2:TGID_Y_EN: 0
; COMPUTE_PGM_RSRC2:TGID_Z_EN: 0
; COMPUTE_PGM_RSRC2:TIDIG_COMP_CNT: 1
; COMPUTE_PGM_RSRC3_GFX90A:ACCUM_OFFSET: 4
; COMPUTE_PGM_RSRC3_GFX90A:TG_SPLIT: 0
	.section	.text._Z13topk_moe_cudaILi4ELb0EEvPKfPfPiS2_iiff15topk_moe_config,"axG",@progbits,_Z13topk_moe_cudaILi4ELb0EEvPKfPfPiS2_iiff15topk_moe_config,comdat
	.protected	_Z13topk_moe_cudaILi4ELb0EEvPKfPfPiS2_iiff15topk_moe_config ; -- Begin function _Z13topk_moe_cudaILi4ELb0EEvPKfPfPiS2_iiff15topk_moe_config
	.globl	_Z13topk_moe_cudaILi4ELb0EEvPKfPfPiS2_iiff15topk_moe_config
	.p2align	8
	.type	_Z13topk_moe_cudaILi4ELb0EEvPKfPfPiS2_iiff15topk_moe_config,@function
_Z13topk_moe_cudaILi4ELb0EEvPKfPfPiS2_iiff15topk_moe_config: ; @_Z13topk_moe_cudaILi4ELb0EEvPKfPfPiS2_iiff15topk_moe_config
; %bb.0:
	s_load_dword s3, s[0:1], 0x44
	s_load_dwordx4 s[4:7], s[0:1], 0x20
	v_bfe_u32 v1, v0, 10, 10
	s_waitcnt lgkmcnt(0)
	s_lshr_b32 s3, s3, 16
	s_mul_i32 s2, s2, s3
	v_add_u32_e32 v4, s2, v1
	v_cmp_gt_i32_e32 vcc, s4, v4
	s_and_saveexec_b64 s[2:3], vcc
	s_cbranch_execz .LBB13_41
; %bb.1:
	v_mov_b32_e32 v1, 0
	global_load_ushort v6, v1, s[0:1] offset:48
	global_load_sbyte v7, v1, s[0:1] offset:50
	s_load_dwordx4 s[8:11], s[0:1], 0x0
	s_load_dwordx2 s[2:3], s[0:1], 0x10
	v_lshlrev_b32_e32 v2, 2, v4
	v_and_b32_e32 v5, 0x3ff, v0
	v_mov_b32_e32 v8, 0xff800000
	v_ashrrev_i32_e32 v3, 31, v2
	v_cmp_gt_u32_e32 vcc, 4, v5
	v_lshlrev_b32_e32 v0, 2, v5
	s_waitcnt vmcnt(1)
	v_readfirstlane_b32 s4, v6
	s_and_saveexec_b64 s[0:1], vcc
	s_cbranch_execz .LBB13_3
; %bb.2:
	s_waitcnt lgkmcnt(0)
	v_mov_b32_e32 v8, s8
	v_mov_b32_e32 v9, s9
	v_lshl_add_u64 v[8:9], v[2:3], 2, v[8:9]
	v_lshl_add_u64 v[8:9], v[8:9], 0, v[0:1]
	global_load_dword v8, v[8:9], off
.LBB13_3:
	s_or_b64 exec, exec, s[0:1]
	s_waitcnt vmcnt(0)
	v_and_b32_e32 v1, 1, v7
	v_cmp_eq_u32_e64 s[0:1], 1, v1
	s_and_b64 vcc, exec, s[0:1]
	s_cbranch_vccnz .LBB13_9
; %bb.4:
	v_and_b32_e32 v1, 1, v6
	v_cmp_eq_u32_e32 vcc, 0, v1
	s_cbranch_vccz .LBB13_6
; %bb.5:
	v_mbcnt_lo_u32_b32 v6, -1, 0
	v_mbcnt_hi_u32_b32 v6, -1, v6
	v_and_b32_e32 v7, 0x60, v6
	v_add_u32_e32 v7, 32, v7
	v_xor_b32_e32 v9, 16, v6
	v_cmp_lt_i32_e32 vcc, v9, v7
	v_max_f32_e32 v1, v8, v8
	v_max_f32_e32 v1, 0xff800000, v1
	v_cndmask_b32_e32 v9, v6, v9, vcc
	v_lshlrev_b32_e32 v9, 2, v9
	ds_bpermute_b32 v10, v9, v1
	s_waitcnt lgkmcnt(0)
	s_mov_b32 s8, 0x3fb8aa3b
	v_max_f32_e32 v10, v10, v10
	v_max_f32_e32 v1, v1, v10
	v_xor_b32_e32 v10, 8, v6
	v_cmp_lt_i32_e32 vcc, v10, v7
	s_nop 1
	v_cndmask_b32_e32 v10, v6, v10, vcc
	v_lshlrev_b32_e32 v10, 2, v10
	ds_bpermute_b32 v11, v10, v1
	s_waitcnt lgkmcnt(0)
	v_max_f32_e32 v11, v11, v11
	v_max_f32_e32 v1, v1, v11
	v_xor_b32_e32 v11, 4, v6
	v_cmp_lt_i32_e32 vcc, v11, v7
	s_nop 1
	v_cndmask_b32_e32 v11, v6, v11, vcc
	v_lshlrev_b32_e32 v11, 2, v11
	ds_bpermute_b32 v12, v11, v1
	s_waitcnt lgkmcnt(0)
	;; [unrolled: 9-line block ×4, first 2 shown]
	v_max_f32_e32 v7, v7, v7
	v_max_f32_e32 v1, v1, v7
	v_sub_f32_e32 v1, v8, v1
	v_mul_f32_e32 v7, 0x3fb8aa3b, v1
	v_fma_f32 v13, v1, s8, -v7
	v_rndne_f32_e32 v14, v7
	v_fmamk_f32 v13, v1, 0x32a5705f, v13
	v_sub_f32_e32 v7, v7, v14
	v_add_f32_e32 v7, v7, v13
	v_exp_f32_e32 v7, v7
	v_cvt_i32_f32_e32 v13, v14
	s_mov_b32 s8, 0xc2ce8ed0
	v_cmp_ngt_f32_e32 vcc, s8, v1
	s_mov_b32 s8, 0x42b17218
	v_ldexp_f32 v7, v7, v13
	v_cndmask_b32_e32 v7, 0, v7, vcc
	v_mov_b32_e32 v13, 0x7f800000
	v_cmp_nlt_f32_e32 vcc, s8, v1
	s_nop 1
	v_cndmask_b32_e32 v1, v13, v7, vcc
	ds_bpermute_b32 v7, v9, v1
	s_waitcnt lgkmcnt(0)
	v_add_f32_e32 v7, v1, v7
	ds_bpermute_b32 v9, v10, v7
	s_waitcnt lgkmcnt(0)
	v_add_f32_e32 v7, v7, v9
	;; [unrolled: 3-line block ×5, first 2 shown]
	v_div_scale_f32 v7, s[8:9], v6, v6, 1.0
	v_rcp_f32_e32 v9, v7
	v_div_scale_f32 v10, vcc, 1.0, v6, 1.0
	v_fma_f32 v11, -v7, v9, 1.0
	v_fmac_f32_e32 v9, v11, v9
	v_mul_f32_e32 v11, v10, v9
	v_fma_f32 v12, -v7, v11, v10
	v_fmac_f32_e32 v11, v12, v9
	v_fma_f32 v7, -v7, v11, v10
	v_div_fmas_f32 v7, v7, v9, v11
	v_div_fixup_f32 v6, v7, v6, 1.0
	v_mul_f32_e32 v1, v1, v6
	s_cbranch_execz .LBB13_7
	s_branch .LBB13_8
.LBB13_6:
	s_waitcnt lgkmcnt(0)
                                        ; implicit-def: $vgpr1
.LBB13_7:
	v_mul_f32_e32 v1, 0xbfb8aa3b, v8
	s_mov_b32 s8, 0xbfb8aa3b
	v_rndne_f32_e32 v6, v1
	v_sub_f32_e32 v7, v1, v6
	v_fma_f32 v1, v8, s8, -v1
	v_fmamk_f32 v1, v8, 0xb2a5705f, v1
	v_add_f32_e32 v1, v7, v1
	v_exp_f32_e32 v1, v1
	v_cvt_i32_f32_e32 v6, v6
	s_mov_b32 s8, 0x42ce8ed0
	v_cmp_nlt_f32_e32 vcc, s8, v8
	s_mov_b32 s8, 0xc2b17218
	v_ldexp_f32 v1, v1, v6
	v_cndmask_b32_e32 v1, 0, v1, vcc
	v_mov_b32_e32 v6, 0x7f800000
	v_cmp_ngt_f32_e32 vcc, s8, v8
	s_nop 1
	v_cndmask_b32_e32 v1, v6, v1, vcc
	v_add_f32_e32 v1, 1.0, v1
	v_div_scale_f32 v6, s[8:9], v1, v1, 1.0
	v_rcp_f32_e32 v7, v6
	s_nop 0
	v_fma_f32 v8, -v6, v7, 1.0
	v_fmac_f32_e32 v7, v8, v7
	v_div_scale_f32 v8, vcc, 1.0, v1, 1.0
	v_mul_f32_e32 v9, v8, v7
	v_fma_f32 v10, -v6, v9, v8
	v_fmac_f32_e32 v9, v10, v7
	v_fma_f32 v6, -v6, v9, v8
	v_div_fmas_f32 v6, v6, v7, v9
	v_div_fixup_f32 v1, v6, v1, 1.0
.LBB13_8:
	v_mov_b32_e32 v8, v1
.LBB13_9:
	s_lshr_b32 s14, s4, 8
	s_cmp_gt_i32 s5, 0
	s_cbranch_scc1 .LBB13_11
; %bb.10:
	s_bitcmp1_b32 s14, 0
	s_mov_b64 s[12:13], 0
	s_waitcnt lgkmcnt(0)
	s_cselect_b64 s[8:9], -1, 0
	s_branch .LBB13_12
.LBB13_11:
	s_mov_b64 s[12:13], -1
                                        ; implicit-def: $sgpr8_sgpr9
.LBB13_12:
	v_mov_b32_e32 v7, 0
	s_andn2_b64 vcc, exec, s[12:13]
	v_mbcnt_lo_u32_b32 v6, -1, 0
	v_mov_b32_e32 v1, 0
	s_cbranch_vccnz .LBB13_37
; %bb.13:
	v_mov_b32_e32 v1, 0xff7fffff
	v_cmp_o_f32_e32 vcc, v8, v8
	s_waitcnt lgkmcnt(0)
	v_mov_b32_e32 v10, s2
	v_mov_b32_e32 v11, s3
	v_cndmask_b32_e32 v8, v1, v8, vcc
	v_mbcnt_hi_u32_b32 v1, -1, v6
	v_and_b32_e32 v7, 0x60, v1
	v_add_u32_e32 v7, 32, v7
	v_xor_b32_e32 v9, 16, v1
	v_lshl_add_u64 v[2:3], v[2:3], 2, v[10:11]
	v_cmp_lt_i32_e32 vcc, v9, v7
	v_xor_b32_e32 v10, 8, v1
	v_xor_b32_e32 v11, 4, v1
	v_cndmask_b32_e32 v9, v1, v9, vcc
	v_cmp_lt_i32_e32 vcc, v10, v7
	v_xor_b32_e32 v12, 2, v1
	v_xor_b32_e32 v13, 1, v1
	v_cndmask_b32_e32 v10, v1, v10, vcc
	v_cmp_lt_i32_e32 vcc, v11, v7
	s_bitcmp1_b32 s14, 0
	s_mov_b32 s4, 0
	v_cndmask_b32_e32 v11, v1, v11, vcc
	v_cmp_lt_i32_e32 vcc, v12, v7
	s_cselect_b64 s[8:9], -1, 0
	v_lshlrev_b32_e32 v9, 2, v9
	v_cndmask_b32_e32 v12, v1, v12, vcc
	v_cmp_lt_i32_e32 vcc, v13, v7
	v_lshlrev_b32_e32 v10, 2, v10
	v_lshlrev_b32_e32 v11, 2, v11
	v_cndmask_b32_e32 v1, v1, v13, vcc
	v_lshlrev_b32_e32 v12, 2, v12
	v_lshlrev_b32_e32 v13, 2, v1
	v_mov_b32_e32 v7, 0
	v_mov_b32_e32 v14, 0xff800000
	;; [unrolled: 1-line block ×3, first 2 shown]
	s_branch .LBB13_15
.LBB13_14:                              ;   in Loop: Header=BB13_15 Depth=1
	s_or_b64 exec, exec, s[2:3]
	s_and_b32 s2, s4, 31
	v_cndmask_b32_e32 v8, v8, v14, vcc
	v_cmp_eq_u32_e32 vcc, s2, v5
	s_add_i32 s4, s4, 1
	s_cmp_eq_u32 s5, s4
	v_cndmask_b32_e32 v1, v1, v15, vcc
	v_lshl_add_u64 v[2:3], v[2:3], 0, 4
	s_cbranch_scc1 .LBB13_37
.LBB13_15:                              ; =>This Inner Loop Header: Depth=1
	s_waitcnt lgkmcnt(0)
	ds_bpermute_b32 v18, v9, v8
	ds_bpermute_b32 v19, v9, v5
	s_waitcnt lgkmcnt(1)
	v_cmp_lt_f32_e64 s[12:13], v8, v18
	v_cmp_nlt_f32_e32 vcc, v8, v18
	s_and_saveexec_b64 s[14:15], vcc
	s_cbranch_execz .LBB13_17
; %bb.16:                               ;   in Loop: Header=BB13_15 Depth=1
	v_cmp_eq_f32_e32 vcc, v8, v18
	s_waitcnt lgkmcnt(0)
	v_cmp_lt_i32_e64 s[2:3], v19, v5
	s_and_b64 s[2:3], vcc, s[2:3]
	s_andn2_b64 s[12:13], s[12:13], exec
	s_and_b64 s[2:3], s[2:3], exec
	s_or_b64 s[12:13], s[12:13], s[2:3]
.LBB13_17:                              ;   in Loop: Header=BB13_15 Depth=1
	s_or_b64 exec, exec, s[14:15]
	v_mov_b32_e32 v17, v8
	v_mov_b32_e32 v15, v8
	;; [unrolled: 1-line block ×3, first 2 shown]
	s_and_saveexec_b64 s[2:3], s[12:13]
	s_cbranch_execz .LBB13_19
; %bb.18:                               ;   in Loop: Header=BB13_15 Depth=1
	v_mov_b32_e32 v17, v18
	v_mov_b32_e32 v15, v18
	s_waitcnt lgkmcnt(0)
	v_mov_b32_e32 v16, v19
.LBB13_19:                              ;   in Loop: Header=BB13_15 Depth=1
	s_or_b64 exec, exec, s[2:3]
	ds_bpermute_b32 v18, v10, v17
	s_waitcnt lgkmcnt(1)
	ds_bpermute_b32 v19, v10, v16
	s_waitcnt lgkmcnt(1)
	v_cmp_lt_f32_e64 s[12:13], v15, v18
	v_cmp_nlt_f32_e32 vcc, v15, v18
	s_and_saveexec_b64 s[14:15], vcc
	s_cbranch_execz .LBB13_21
; %bb.20:                               ;   in Loop: Header=BB13_15 Depth=1
	v_cmp_eq_f32_e32 vcc, v15, v18
	s_waitcnt lgkmcnt(0)
	v_cmp_lt_i32_e64 s[2:3], v19, v16
	s_and_b64 s[2:3], vcc, s[2:3]
	s_andn2_b64 s[12:13], s[12:13], exec
	s_and_b64 s[2:3], s[2:3], exec
	s_or_b64 s[12:13], s[12:13], s[2:3]
.LBB13_21:                              ;   in Loop: Header=BB13_15 Depth=1
	s_or_b64 exec, exec, s[14:15]
	s_and_saveexec_b64 s[2:3], s[12:13]
	s_cbranch_execz .LBB13_23
; %bb.22:                               ;   in Loop: Header=BB13_15 Depth=1
	v_mov_b32_e32 v17, v18
	v_mov_b32_e32 v15, v18
	s_waitcnt lgkmcnt(0)
	v_mov_b32_e32 v16, v19
.LBB13_23:                              ;   in Loop: Header=BB13_15 Depth=1
	s_or_b64 exec, exec, s[2:3]
	ds_bpermute_b32 v18, v11, v17
	s_waitcnt lgkmcnt(1)
	ds_bpermute_b32 v19, v11, v16
	s_waitcnt lgkmcnt(1)
	v_cmp_lt_f32_e64 s[12:13], v15, v18
	v_cmp_nlt_f32_e32 vcc, v15, v18
	s_and_saveexec_b64 s[14:15], vcc
	s_cbranch_execz .LBB13_25
; %bb.24:                               ;   in Loop: Header=BB13_15 Depth=1
	v_cmp_eq_f32_e32 vcc, v15, v18
	s_waitcnt lgkmcnt(0)
	v_cmp_lt_i32_e64 s[2:3], v19, v16
	s_and_b64 s[2:3], vcc, s[2:3]
	s_andn2_b64 s[12:13], s[12:13], exec
	s_and_b64 s[2:3], s[2:3], exec
	s_or_b64 s[12:13], s[12:13], s[2:3]
.LBB13_25:                              ;   in Loop: Header=BB13_15 Depth=1
	s_or_b64 exec, exec, s[14:15]
	;; [unrolled: 27-line block ×3, first 2 shown]
	s_and_saveexec_b64 s[2:3], s[12:13]
	s_cbranch_execz .LBB13_31
; %bb.30:                               ;   in Loop: Header=BB13_15 Depth=1
	v_mov_b32_e32 v17, v18
	v_mov_b32_e32 v15, v18
	s_waitcnt lgkmcnt(0)
	v_mov_b32_e32 v16, v19
.LBB13_31:                              ;   in Loop: Header=BB13_15 Depth=1
	s_or_b64 exec, exec, s[2:3]
	ds_bpermute_b32 v17, v13, v17
	ds_bpermute_b32 v18, v13, v16
	s_waitcnt lgkmcnt(1)
	v_cmp_lt_f32_e64 s[12:13], v15, v17
	v_cmp_nlt_f32_e32 vcc, v15, v17
	s_and_saveexec_b64 s[14:15], vcc
	s_cbranch_execz .LBB13_33
; %bb.32:                               ;   in Loop: Header=BB13_15 Depth=1
	v_cmp_eq_f32_e32 vcc, v15, v17
	s_waitcnt lgkmcnt(0)
	v_cmp_lt_i32_e64 s[2:3], v18, v16
	s_and_b64 s[2:3], vcc, s[2:3]
	s_andn2_b64 s[12:13], s[12:13], exec
	s_and_b64 s[2:3], s[2:3], exec
	s_or_b64 s[12:13], s[12:13], s[2:3]
.LBB13_33:                              ;   in Loop: Header=BB13_15 Depth=1
	s_or_b64 exec, exec, s[14:15]
	s_and_saveexec_b64 s[2:3], s[12:13]
	s_cbranch_execz .LBB13_35
; %bb.34:                               ;   in Loop: Header=BB13_15 Depth=1
	v_mov_b32_e32 v15, v17
	s_waitcnt lgkmcnt(0)
	v_mov_b32_e32 v16, v18
.LBB13_35:                              ;   in Loop: Header=BB13_15 Depth=1
	s_or_b64 exec, exec, s[2:3]
	v_and_b32_e32 v17, 31, v16
	v_cmp_eq_u32_e32 vcc, v17, v5
	s_and_saveexec_b64 s[2:3], vcc
	s_cbranch_execz .LBB13_14
; %bb.36:                               ;   in Loop: Header=BB13_15 Depth=1
	v_add_f32_e32 v17, v7, v15
	v_cndmask_b32_e64 v7, v7, v17, s[8:9]
	global_store_dword v[2:3], v16, off
	s_branch .LBB13_14
.LBB13_37:
	s_waitcnt lgkmcnt(0)
	s_and_b64 vcc, exec, s[8:9]
	s_cbranch_vccnz .LBB13_42
; %bb.38:
	s_andn2_b64 vcc, exec, s[0:1]
	v_cmp_gt_i32_e64 s[0:1], s5, v5
	s_cbranch_vccz .LBB13_43
.LBB13_39:
	v_cmp_gt_i32_e32 vcc, s5, v5
	s_and_b64 exec, exec, vcc
	s_cbranch_execz .LBB13_41
.LBB13_40:
	v_mul_lo_u32 v4, v4, s5
	v_mov_b32_e32 v2, s10
	v_mov_b32_e32 v3, s11
	v_ashrrev_i32_e32 v5, 31, v4
	v_lshl_add_u64 v[2:3], v[4:5], 2, v[2:3]
	v_mul_f32_e32 v4, s7, v1
	v_mov_b32_e32 v1, 0
	v_lshl_add_u64 v[0:1], v[2:3], 0, v[0:1]
	global_store_dword v[0:1], v4, off
.LBB13_41:
	s_endpgm
.LBB13_42:
	v_mbcnt_hi_u32_b32 v2, -1, v6
	v_and_b32_e32 v3, 0x60, v2
	v_add_u32_e32 v3, 32, v3
	v_xor_b32_e32 v8, 16, v2
	v_cmp_lt_i32_e32 vcc, v8, v3
	v_xor_b32_e32 v9, 8, v2
	s_nop 0
	v_cndmask_b32_e32 v8, v2, v8, vcc
	v_lshlrev_b32_e32 v8, 2, v8
	ds_bpermute_b32 v8, v8, v7
	v_cmp_lt_i32_e32 vcc, v9, v3
	s_waitcnt lgkmcnt(0)
	v_add_f32_e32 v7, v7, v8
	v_cndmask_b32_e32 v8, v2, v9, vcc
	v_lshlrev_b32_e32 v8, 2, v8
	ds_bpermute_b32 v8, v8, v7
	v_xor_b32_e32 v9, 4, v2
	v_cmp_lt_i32_e32 vcc, v9, v3
	s_waitcnt lgkmcnt(0)
	v_add_f32_e32 v7, v7, v8
	v_cndmask_b32_e32 v8, v2, v9, vcc
	v_lshlrev_b32_e32 v8, 2, v8
	ds_bpermute_b32 v8, v8, v7
	v_xor_b32_e32 v9, 2, v2
	;; [unrolled: 7-line block ×3, first 2 shown]
	v_cmp_lt_i32_e32 vcc, v9, v3
	v_max_f32_e64 v3, s6, s6
	s_waitcnt lgkmcnt(0)
	v_add_f32_e32 v7, v7, v8
	v_cndmask_b32_e32 v2, v2, v9, vcc
	v_lshlrev_b32_e32 v2, 2, v2
	ds_bpermute_b32 v2, v2, v7
	s_waitcnt lgkmcnt(0)
	v_add_f32_e32 v2, v7, v2
	v_max_f32_e32 v2, v2, v3
	v_div_scale_f32 v3, s[2:3], v2, v2, 1.0
	v_rcp_f32_e32 v7, v3
	v_div_scale_f32 v8, vcc, 1.0, v2, 1.0
	v_fma_f32 v9, -v3, v7, 1.0
	v_fmac_f32_e32 v7, v9, v7
	v_mul_f32_e32 v9, v8, v7
	v_fma_f32 v10, -v3, v9, v8
	v_fmac_f32_e32 v9, v10, v7
	v_fma_f32 v3, -v3, v9, v8
	v_div_fmas_f32 v3, v3, v7, v9
	v_div_fixup_f32 v2, v3, v2, 1.0
	v_mul_f32_e32 v1, v2, v1
	s_andn2_b64 vcc, exec, s[0:1]
	v_cmp_gt_i32_e64 s[0:1], s5, v5
	s_cbranch_vccnz .LBB13_39
.LBB13_43:
	v_max_f32_e32 v2, v1, v1
	v_max_f32_e32 v2, 0xff800000, v2
	v_mov_b32_e32 v3, 0xff800000
	v_cndmask_b32_e64 v2, v3, v2, s[0:1]
	v_mbcnt_hi_u32_b32 v3, -1, v6
	v_and_b32_e32 v6, 0x60, v3
	v_add_u32_e32 v6, 32, v6
	v_xor_b32_e32 v7, 16, v3
	v_cmp_lt_i32_e32 vcc, v7, v6
	s_mov_b32 s2, 0x3fb8aa3b
	s_nop 0
	v_cndmask_b32_e32 v7, v3, v7, vcc
	v_lshlrev_b32_e32 v7, 2, v7
	ds_bpermute_b32 v8, v7, v2
	s_waitcnt lgkmcnt(0)
	v_max_f32_e32 v8, v8, v8
	v_max_f32_e32 v2, v2, v8
	v_xor_b32_e32 v8, 8, v3
	v_cmp_lt_i32_e32 vcc, v8, v6
	s_nop 1
	v_cndmask_b32_e32 v8, v3, v8, vcc
	v_lshlrev_b32_e32 v8, 2, v8
	ds_bpermute_b32 v9, v8, v2
	s_waitcnt lgkmcnt(0)
	v_max_f32_e32 v9, v9, v9
	v_max_f32_e32 v2, v2, v9
	v_xor_b32_e32 v9, 4, v3
	v_cmp_lt_i32_e32 vcc, v9, v6
	;; [unrolled: 9-line block ×4, first 2 shown]
	s_nop 1
	v_cndmask_b32_e32 v3, v3, v11, vcc
	v_lshlrev_b32_e32 v6, 2, v3
	ds_bpermute_b32 v3, v6, v2
	s_waitcnt lgkmcnt(0)
	v_max_f32_e32 v3, v3, v3
	v_max_f32_e32 v2, v2, v3
	v_sub_f32_e32 v1, v1, v2
	v_mul_f32_e32 v2, 0x3fb8aa3b, v1
	v_fma_f32 v3, v1, s2, -v2
	v_rndne_f32_e32 v11, v2
	v_fmamk_f32 v3, v1, 0x32a5705f, v3
	v_sub_f32_e32 v2, v2, v11
	v_add_f32_e32 v2, v2, v3
	v_exp_f32_e32 v2, v2
	v_cvt_i32_f32_e32 v3, v11
	s_mov_b32 s2, 0xc2ce8ed0
	v_cmp_ngt_f32_e32 vcc, s2, v1
	s_mov_b32 s2, 0x42b17218
	v_ldexp_f32 v2, v2, v3
	v_cndmask_b32_e32 v2, 0, v2, vcc
	v_mov_b32_e32 v3, 0x7f800000
	v_cmp_nlt_f32_e32 vcc, s2, v1
	s_nop 1
	v_cndmask_b32_e32 v2, v3, v2, vcc
	v_cndmask_b32_e64 v1, 0, v2, s[0:1]
	ds_bpermute_b32 v3, v7, v1
	s_waitcnt lgkmcnt(0)
	v_add_f32_e32 v1, v1, v3
	ds_bpermute_b32 v3, v8, v1
	s_waitcnt lgkmcnt(0)
	v_add_f32_e32 v1, v1, v3
	;; [unrolled: 3-line block ×4, first 2 shown]
	ds_bpermute_b32 v6, v6, v3
	v_mov_b32_e32 v1, 0
	s_and_saveexec_b64 s[2:3], s[0:1]
	s_cbranch_execz .LBB13_45
; %bb.44:
	s_waitcnt lgkmcnt(0)
	v_add_f32_e32 v1, v3, v6
	v_div_scale_f32 v3, s[0:1], v1, v1, 1.0
	v_rcp_f32_e32 v6, v3
	v_div_scale_f32 v7, vcc, 1.0, v1, 1.0
	v_fma_f32 v8, -v3, v6, 1.0
	v_fmac_f32_e32 v6, v8, v6
	v_mul_f32_e32 v8, v7, v6
	v_fma_f32 v9, -v3, v8, v7
	v_fmac_f32_e32 v8, v9, v6
	v_fma_f32 v3, -v3, v8, v7
	v_div_fmas_f32 v3, v3, v6, v8
	v_div_fixup_f32 v1, v3, v1, 1.0
	v_mul_f32_e32 v1, v2, v1
.LBB13_45:
	s_or_b64 exec, exec, s[2:3]
	v_cmp_gt_i32_e32 vcc, s5, v5
	s_and_b64 exec, exec, vcc
	s_cbranch_execnz .LBB13_40
	s_branch .LBB13_41
	.section	.rodata,"a",@progbits
	.p2align	6, 0x0
	.amdhsa_kernel _Z13topk_moe_cudaILi4ELb0EEvPKfPfPiS2_iiff15topk_moe_config
		.amdhsa_group_segment_fixed_size 0
		.amdhsa_private_segment_fixed_size 0
		.amdhsa_kernarg_size 312
		.amdhsa_user_sgpr_count 2
		.amdhsa_user_sgpr_dispatch_ptr 0
		.amdhsa_user_sgpr_queue_ptr 0
		.amdhsa_user_sgpr_kernarg_segment_ptr 1
		.amdhsa_user_sgpr_dispatch_id 0
		.amdhsa_user_sgpr_kernarg_preload_length 0
		.amdhsa_user_sgpr_kernarg_preload_offset 0
		.amdhsa_user_sgpr_private_segment_size 0
		.amdhsa_uses_dynamic_stack 0
		.amdhsa_enable_private_segment 0
		.amdhsa_system_sgpr_workgroup_id_x 1
		.amdhsa_system_sgpr_workgroup_id_y 0
		.amdhsa_system_sgpr_workgroup_id_z 0
		.amdhsa_system_sgpr_workgroup_info 0
		.amdhsa_system_vgpr_workitem_id 1
		.amdhsa_next_free_vgpr 20
		.amdhsa_next_free_sgpr 16
		.amdhsa_accum_offset 20
		.amdhsa_reserve_vcc 1
		.amdhsa_float_round_mode_32 0
		.amdhsa_float_round_mode_16_64 0
		.amdhsa_float_denorm_mode_32 3
		.amdhsa_float_denorm_mode_16_64 3
		.amdhsa_dx10_clamp 1
		.amdhsa_ieee_mode 1
		.amdhsa_fp16_overflow 0
		.amdhsa_tg_split 0
		.amdhsa_exception_fp_ieee_invalid_op 0
		.amdhsa_exception_fp_denorm_src 0
		.amdhsa_exception_fp_ieee_div_zero 0
		.amdhsa_exception_fp_ieee_overflow 0
		.amdhsa_exception_fp_ieee_underflow 0
		.amdhsa_exception_fp_ieee_inexact 0
		.amdhsa_exception_int_div_zero 0
	.end_amdhsa_kernel
	.section	.text._Z13topk_moe_cudaILi4ELb0EEvPKfPfPiS2_iiff15topk_moe_config,"axG",@progbits,_Z13topk_moe_cudaILi4ELb0EEvPKfPfPiS2_iiff15topk_moe_config,comdat
.Lfunc_end13:
	.size	_Z13topk_moe_cudaILi4ELb0EEvPKfPfPiS2_iiff15topk_moe_config, .Lfunc_end13-_Z13topk_moe_cudaILi4ELb0EEvPKfPfPiS2_iiff15topk_moe_config
                                        ; -- End function
	.set _Z13topk_moe_cudaILi4ELb0EEvPKfPfPiS2_iiff15topk_moe_config.num_vgpr, 20
	.set _Z13topk_moe_cudaILi4ELb0EEvPKfPfPiS2_iiff15topk_moe_config.num_agpr, 0
	.set _Z13topk_moe_cudaILi4ELb0EEvPKfPfPiS2_iiff15topk_moe_config.numbered_sgpr, 16
	.set _Z13topk_moe_cudaILi4ELb0EEvPKfPfPiS2_iiff15topk_moe_config.num_named_barrier, 0
	.set _Z13topk_moe_cudaILi4ELb0EEvPKfPfPiS2_iiff15topk_moe_config.private_seg_size, 0
	.set _Z13topk_moe_cudaILi4ELb0EEvPKfPfPiS2_iiff15topk_moe_config.uses_vcc, 1
	.set _Z13topk_moe_cudaILi4ELb0EEvPKfPfPiS2_iiff15topk_moe_config.uses_flat_scratch, 0
	.set _Z13topk_moe_cudaILi4ELb0EEvPKfPfPiS2_iiff15topk_moe_config.has_dyn_sized_stack, 0
	.set _Z13topk_moe_cudaILi4ELb0EEvPKfPfPiS2_iiff15topk_moe_config.has_recursion, 0
	.set _Z13topk_moe_cudaILi4ELb0EEvPKfPfPiS2_iiff15topk_moe_config.has_indirect_call, 0
	.section	.AMDGPU.csdata,"",@progbits
; Kernel info:
; codeLenInByte = 2700
; TotalNumSgprs: 22
; NumVgprs: 20
; NumAgprs: 0
; TotalNumVgprs: 20
; ScratchSize: 0
; MemoryBound: 0
; FloatMode: 240
; IeeeMode: 1
; LDSByteSize: 0 bytes/workgroup (compile time only)
; SGPRBlocks: 2
; VGPRBlocks: 2
; NumSGPRsForWavesPerEU: 22
; NumVGPRsForWavesPerEU: 20
; AccumOffset: 20
; Occupancy: 8
; WaveLimiterHint : 0
; COMPUTE_PGM_RSRC2:SCRATCH_EN: 0
; COMPUTE_PGM_RSRC2:USER_SGPR: 2
; COMPUTE_PGM_RSRC2:TRAP_HANDLER: 0
; COMPUTE_PGM_RSRC2:TGID_X_EN: 1
; COMPUTE_PGM_RSRC2:TGID_Y_EN: 0
; COMPUTE_PGM_RSRC2:TGID_Z_EN: 0
; COMPUTE_PGM_RSRC2:TIDIG_COMP_CNT: 1
; COMPUTE_PGM_RSRC3_GFX90A:ACCUM_OFFSET: 4
; COMPUTE_PGM_RSRC3_GFX90A:TG_SPLIT: 0
	.section	.text._Z13topk_moe_cudaILi8ELb0EEvPKfPfPiS2_iiff15topk_moe_config,"axG",@progbits,_Z13topk_moe_cudaILi8ELb0EEvPKfPfPiS2_iiff15topk_moe_config,comdat
	.protected	_Z13topk_moe_cudaILi8ELb0EEvPKfPfPiS2_iiff15topk_moe_config ; -- Begin function _Z13topk_moe_cudaILi8ELb0EEvPKfPfPiS2_iiff15topk_moe_config
	.globl	_Z13topk_moe_cudaILi8ELb0EEvPKfPfPiS2_iiff15topk_moe_config
	.p2align	8
	.type	_Z13topk_moe_cudaILi8ELb0EEvPKfPfPiS2_iiff15topk_moe_config,@function
_Z13topk_moe_cudaILi8ELb0EEvPKfPfPiS2_iiff15topk_moe_config: ; @_Z13topk_moe_cudaILi8ELb0EEvPKfPfPiS2_iiff15topk_moe_config
; %bb.0:
	s_load_dword s3, s[0:1], 0x44
	s_load_dwordx4 s[4:7], s[0:1], 0x20
	v_bfe_u32 v1, v0, 10, 10
	s_waitcnt lgkmcnt(0)
	s_lshr_b32 s3, s3, 16
	s_mul_i32 s2, s2, s3
	v_add_u32_e32 v4, s2, v1
	v_cmp_gt_i32_e32 vcc, s4, v4
	s_and_saveexec_b64 s[2:3], vcc
	s_cbranch_execz .LBB14_41
; %bb.1:
	v_mov_b32_e32 v1, 0
	global_load_ushort v6, v1, s[0:1] offset:48
	global_load_sbyte v7, v1, s[0:1] offset:50
	s_load_dwordx4 s[8:11], s[0:1], 0x0
	s_load_dwordx2 s[2:3], s[0:1], 0x10
	v_lshlrev_b32_e32 v2, 3, v4
	v_and_b32_e32 v5, 0x3ff, v0
	v_mov_b32_e32 v8, 0xff800000
	v_ashrrev_i32_e32 v3, 31, v2
	v_cmp_gt_u32_e32 vcc, 8, v5
	v_lshlrev_b32_e32 v0, 2, v5
	s_waitcnt vmcnt(1)
	v_readfirstlane_b32 s4, v6
	s_and_saveexec_b64 s[0:1], vcc
	s_cbranch_execz .LBB14_3
; %bb.2:
	s_waitcnt lgkmcnt(0)
	v_mov_b32_e32 v8, s8
	v_mov_b32_e32 v9, s9
	v_lshl_add_u64 v[8:9], v[2:3], 2, v[8:9]
	v_lshl_add_u64 v[8:9], v[8:9], 0, v[0:1]
	global_load_dword v8, v[8:9], off
.LBB14_3:
	s_or_b64 exec, exec, s[0:1]
	s_waitcnt vmcnt(0)
	v_and_b32_e32 v1, 1, v7
	v_cmp_eq_u32_e64 s[0:1], 1, v1
	s_and_b64 vcc, exec, s[0:1]
	s_cbranch_vccnz .LBB14_9
; %bb.4:
	v_and_b32_e32 v1, 1, v6
	v_cmp_eq_u32_e32 vcc, 0, v1
	s_cbranch_vccz .LBB14_6
; %bb.5:
	v_mbcnt_lo_u32_b32 v6, -1, 0
	v_mbcnt_hi_u32_b32 v6, -1, v6
	v_and_b32_e32 v7, 0x60, v6
	v_add_u32_e32 v7, 32, v7
	v_xor_b32_e32 v9, 16, v6
	v_cmp_lt_i32_e32 vcc, v9, v7
	v_max_f32_e32 v1, v8, v8
	v_max_f32_e32 v1, 0xff800000, v1
	v_cndmask_b32_e32 v9, v6, v9, vcc
	v_lshlrev_b32_e32 v9, 2, v9
	ds_bpermute_b32 v10, v9, v1
	s_waitcnt lgkmcnt(0)
	s_mov_b32 s8, 0x3fb8aa3b
	v_max_f32_e32 v10, v10, v10
	v_max_f32_e32 v1, v1, v10
	v_xor_b32_e32 v10, 8, v6
	v_cmp_lt_i32_e32 vcc, v10, v7
	s_nop 1
	v_cndmask_b32_e32 v10, v6, v10, vcc
	v_lshlrev_b32_e32 v10, 2, v10
	ds_bpermute_b32 v11, v10, v1
	s_waitcnt lgkmcnt(0)
	v_max_f32_e32 v11, v11, v11
	v_max_f32_e32 v1, v1, v11
	v_xor_b32_e32 v11, 4, v6
	v_cmp_lt_i32_e32 vcc, v11, v7
	s_nop 1
	v_cndmask_b32_e32 v11, v6, v11, vcc
	v_lshlrev_b32_e32 v11, 2, v11
	ds_bpermute_b32 v12, v11, v1
	s_waitcnt lgkmcnt(0)
	;; [unrolled: 9-line block ×4, first 2 shown]
	v_max_f32_e32 v7, v7, v7
	v_max_f32_e32 v1, v1, v7
	v_sub_f32_e32 v1, v8, v1
	v_mul_f32_e32 v7, 0x3fb8aa3b, v1
	v_fma_f32 v13, v1, s8, -v7
	v_rndne_f32_e32 v14, v7
	v_fmamk_f32 v13, v1, 0x32a5705f, v13
	v_sub_f32_e32 v7, v7, v14
	v_add_f32_e32 v7, v7, v13
	v_exp_f32_e32 v7, v7
	v_cvt_i32_f32_e32 v13, v14
	s_mov_b32 s8, 0xc2ce8ed0
	v_cmp_ngt_f32_e32 vcc, s8, v1
	s_mov_b32 s8, 0x42b17218
	v_ldexp_f32 v7, v7, v13
	v_cndmask_b32_e32 v7, 0, v7, vcc
	v_mov_b32_e32 v13, 0x7f800000
	v_cmp_nlt_f32_e32 vcc, s8, v1
	s_nop 1
	v_cndmask_b32_e32 v1, v13, v7, vcc
	ds_bpermute_b32 v7, v9, v1
	s_waitcnt lgkmcnt(0)
	v_add_f32_e32 v7, v1, v7
	ds_bpermute_b32 v9, v10, v7
	s_waitcnt lgkmcnt(0)
	v_add_f32_e32 v7, v7, v9
	;; [unrolled: 3-line block ×5, first 2 shown]
	v_div_scale_f32 v7, s[8:9], v6, v6, 1.0
	v_rcp_f32_e32 v9, v7
	v_div_scale_f32 v10, vcc, 1.0, v6, 1.0
	v_fma_f32 v11, -v7, v9, 1.0
	v_fmac_f32_e32 v9, v11, v9
	v_mul_f32_e32 v11, v10, v9
	v_fma_f32 v12, -v7, v11, v10
	v_fmac_f32_e32 v11, v12, v9
	v_fma_f32 v7, -v7, v11, v10
	v_div_fmas_f32 v7, v7, v9, v11
	v_div_fixup_f32 v6, v7, v6, 1.0
	v_mul_f32_e32 v1, v1, v6
	s_cbranch_execz .LBB14_7
	s_branch .LBB14_8
.LBB14_6:
	s_waitcnt lgkmcnt(0)
                                        ; implicit-def: $vgpr1
.LBB14_7:
	v_mul_f32_e32 v1, 0xbfb8aa3b, v8
	s_mov_b32 s8, 0xbfb8aa3b
	v_rndne_f32_e32 v6, v1
	v_sub_f32_e32 v7, v1, v6
	v_fma_f32 v1, v8, s8, -v1
	v_fmamk_f32 v1, v8, 0xb2a5705f, v1
	v_add_f32_e32 v1, v7, v1
	v_exp_f32_e32 v1, v1
	v_cvt_i32_f32_e32 v6, v6
	s_mov_b32 s8, 0x42ce8ed0
	v_cmp_nlt_f32_e32 vcc, s8, v8
	s_mov_b32 s8, 0xc2b17218
	v_ldexp_f32 v1, v1, v6
	v_cndmask_b32_e32 v1, 0, v1, vcc
	v_mov_b32_e32 v6, 0x7f800000
	v_cmp_ngt_f32_e32 vcc, s8, v8
	s_nop 1
	v_cndmask_b32_e32 v1, v6, v1, vcc
	v_add_f32_e32 v1, 1.0, v1
	v_div_scale_f32 v6, s[8:9], v1, v1, 1.0
	v_rcp_f32_e32 v7, v6
	s_nop 0
	v_fma_f32 v8, -v6, v7, 1.0
	v_fmac_f32_e32 v7, v8, v7
	v_div_scale_f32 v8, vcc, 1.0, v1, 1.0
	v_mul_f32_e32 v9, v8, v7
	v_fma_f32 v10, -v6, v9, v8
	v_fmac_f32_e32 v9, v10, v7
	v_fma_f32 v6, -v6, v9, v8
	v_div_fmas_f32 v6, v6, v7, v9
	v_div_fixup_f32 v1, v6, v1, 1.0
.LBB14_8:
	v_mov_b32_e32 v8, v1
.LBB14_9:
	s_lshr_b32 s14, s4, 8
	s_cmp_gt_i32 s5, 0
	s_cbranch_scc1 .LBB14_11
; %bb.10:
	s_bitcmp1_b32 s14, 0
	s_mov_b64 s[12:13], 0
	s_waitcnt lgkmcnt(0)
	s_cselect_b64 s[8:9], -1, 0
	s_branch .LBB14_12
.LBB14_11:
	s_mov_b64 s[12:13], -1
                                        ; implicit-def: $sgpr8_sgpr9
.LBB14_12:
	v_mov_b32_e32 v7, 0
	s_andn2_b64 vcc, exec, s[12:13]
	v_mbcnt_lo_u32_b32 v6, -1, 0
	v_mov_b32_e32 v1, 0
	s_cbranch_vccnz .LBB14_37
; %bb.13:
	v_mov_b32_e32 v1, 0xff7fffff
	v_cmp_o_f32_e32 vcc, v8, v8
	s_waitcnt lgkmcnt(0)
	v_mov_b32_e32 v10, s2
	v_mov_b32_e32 v11, s3
	v_cndmask_b32_e32 v8, v1, v8, vcc
	v_mbcnt_hi_u32_b32 v1, -1, v6
	v_and_b32_e32 v7, 0x60, v1
	v_add_u32_e32 v7, 32, v7
	v_xor_b32_e32 v9, 16, v1
	v_lshl_add_u64 v[2:3], v[2:3], 2, v[10:11]
	v_cmp_lt_i32_e32 vcc, v9, v7
	v_xor_b32_e32 v10, 8, v1
	v_xor_b32_e32 v11, 4, v1
	v_cndmask_b32_e32 v9, v1, v9, vcc
	v_cmp_lt_i32_e32 vcc, v10, v7
	v_xor_b32_e32 v12, 2, v1
	v_xor_b32_e32 v13, 1, v1
	v_cndmask_b32_e32 v10, v1, v10, vcc
	v_cmp_lt_i32_e32 vcc, v11, v7
	s_bitcmp1_b32 s14, 0
	s_mov_b32 s4, 0
	v_cndmask_b32_e32 v11, v1, v11, vcc
	v_cmp_lt_i32_e32 vcc, v12, v7
	s_cselect_b64 s[8:9], -1, 0
	v_lshlrev_b32_e32 v9, 2, v9
	v_cndmask_b32_e32 v12, v1, v12, vcc
	v_cmp_lt_i32_e32 vcc, v13, v7
	v_lshlrev_b32_e32 v10, 2, v10
	v_lshlrev_b32_e32 v11, 2, v11
	v_cndmask_b32_e32 v1, v1, v13, vcc
	v_lshlrev_b32_e32 v12, 2, v12
	v_lshlrev_b32_e32 v13, 2, v1
	v_mov_b32_e32 v7, 0
	v_mov_b32_e32 v14, 0xff800000
	;; [unrolled: 1-line block ×3, first 2 shown]
	s_branch .LBB14_15
.LBB14_14:                              ;   in Loop: Header=BB14_15 Depth=1
	s_or_b64 exec, exec, s[2:3]
	s_and_b32 s2, s4, 31
	v_cndmask_b32_e32 v8, v8, v14, vcc
	v_cmp_eq_u32_e32 vcc, s2, v5
	s_add_i32 s4, s4, 1
	s_cmp_eq_u32 s5, s4
	v_cndmask_b32_e32 v1, v1, v15, vcc
	v_lshl_add_u64 v[2:3], v[2:3], 0, 4
	s_cbranch_scc1 .LBB14_37
.LBB14_15:                              ; =>This Inner Loop Header: Depth=1
	s_waitcnt lgkmcnt(0)
	ds_bpermute_b32 v18, v9, v8
	ds_bpermute_b32 v19, v9, v5
	s_waitcnt lgkmcnt(1)
	v_cmp_lt_f32_e64 s[12:13], v8, v18
	v_cmp_nlt_f32_e32 vcc, v8, v18
	s_and_saveexec_b64 s[14:15], vcc
	s_cbranch_execz .LBB14_17
; %bb.16:                               ;   in Loop: Header=BB14_15 Depth=1
	v_cmp_eq_f32_e32 vcc, v8, v18
	s_waitcnt lgkmcnt(0)
	v_cmp_lt_i32_e64 s[2:3], v19, v5
	s_and_b64 s[2:3], vcc, s[2:3]
	s_andn2_b64 s[12:13], s[12:13], exec
	s_and_b64 s[2:3], s[2:3], exec
	s_or_b64 s[12:13], s[12:13], s[2:3]
.LBB14_17:                              ;   in Loop: Header=BB14_15 Depth=1
	s_or_b64 exec, exec, s[14:15]
	v_mov_b32_e32 v17, v8
	v_mov_b32_e32 v15, v8
	v_mov_b32_e32 v16, v5
	s_and_saveexec_b64 s[2:3], s[12:13]
	s_cbranch_execz .LBB14_19
; %bb.18:                               ;   in Loop: Header=BB14_15 Depth=1
	v_mov_b32_e32 v17, v18
	v_mov_b32_e32 v15, v18
	s_waitcnt lgkmcnt(0)
	v_mov_b32_e32 v16, v19
.LBB14_19:                              ;   in Loop: Header=BB14_15 Depth=1
	s_or_b64 exec, exec, s[2:3]
	ds_bpermute_b32 v18, v10, v17
	s_waitcnt lgkmcnt(1)
	ds_bpermute_b32 v19, v10, v16
	s_waitcnt lgkmcnt(1)
	v_cmp_lt_f32_e64 s[12:13], v15, v18
	v_cmp_nlt_f32_e32 vcc, v15, v18
	s_and_saveexec_b64 s[14:15], vcc
	s_cbranch_execz .LBB14_21
; %bb.20:                               ;   in Loop: Header=BB14_15 Depth=1
	v_cmp_eq_f32_e32 vcc, v15, v18
	s_waitcnt lgkmcnt(0)
	v_cmp_lt_i32_e64 s[2:3], v19, v16
	s_and_b64 s[2:3], vcc, s[2:3]
	s_andn2_b64 s[12:13], s[12:13], exec
	s_and_b64 s[2:3], s[2:3], exec
	s_or_b64 s[12:13], s[12:13], s[2:3]
.LBB14_21:                              ;   in Loop: Header=BB14_15 Depth=1
	s_or_b64 exec, exec, s[14:15]
	s_and_saveexec_b64 s[2:3], s[12:13]
	s_cbranch_execz .LBB14_23
; %bb.22:                               ;   in Loop: Header=BB14_15 Depth=1
	v_mov_b32_e32 v17, v18
	v_mov_b32_e32 v15, v18
	s_waitcnt lgkmcnt(0)
	v_mov_b32_e32 v16, v19
.LBB14_23:                              ;   in Loop: Header=BB14_15 Depth=1
	s_or_b64 exec, exec, s[2:3]
	ds_bpermute_b32 v18, v11, v17
	s_waitcnt lgkmcnt(1)
	ds_bpermute_b32 v19, v11, v16
	s_waitcnt lgkmcnt(1)
	v_cmp_lt_f32_e64 s[12:13], v15, v18
	v_cmp_nlt_f32_e32 vcc, v15, v18
	s_and_saveexec_b64 s[14:15], vcc
	s_cbranch_execz .LBB14_25
; %bb.24:                               ;   in Loop: Header=BB14_15 Depth=1
	v_cmp_eq_f32_e32 vcc, v15, v18
	s_waitcnt lgkmcnt(0)
	v_cmp_lt_i32_e64 s[2:3], v19, v16
	s_and_b64 s[2:3], vcc, s[2:3]
	s_andn2_b64 s[12:13], s[12:13], exec
	s_and_b64 s[2:3], s[2:3], exec
	s_or_b64 s[12:13], s[12:13], s[2:3]
.LBB14_25:                              ;   in Loop: Header=BB14_15 Depth=1
	s_or_b64 exec, exec, s[14:15]
	;; [unrolled: 27-line block ×3, first 2 shown]
	s_and_saveexec_b64 s[2:3], s[12:13]
	s_cbranch_execz .LBB14_31
; %bb.30:                               ;   in Loop: Header=BB14_15 Depth=1
	v_mov_b32_e32 v17, v18
	v_mov_b32_e32 v15, v18
	s_waitcnt lgkmcnt(0)
	v_mov_b32_e32 v16, v19
.LBB14_31:                              ;   in Loop: Header=BB14_15 Depth=1
	s_or_b64 exec, exec, s[2:3]
	ds_bpermute_b32 v17, v13, v17
	ds_bpermute_b32 v18, v13, v16
	s_waitcnt lgkmcnt(1)
	v_cmp_lt_f32_e64 s[12:13], v15, v17
	v_cmp_nlt_f32_e32 vcc, v15, v17
	s_and_saveexec_b64 s[14:15], vcc
	s_cbranch_execz .LBB14_33
; %bb.32:                               ;   in Loop: Header=BB14_15 Depth=1
	v_cmp_eq_f32_e32 vcc, v15, v17
	s_waitcnt lgkmcnt(0)
	v_cmp_lt_i32_e64 s[2:3], v18, v16
	s_and_b64 s[2:3], vcc, s[2:3]
	s_andn2_b64 s[12:13], s[12:13], exec
	s_and_b64 s[2:3], s[2:3], exec
	s_or_b64 s[12:13], s[12:13], s[2:3]
.LBB14_33:                              ;   in Loop: Header=BB14_15 Depth=1
	s_or_b64 exec, exec, s[14:15]
	s_and_saveexec_b64 s[2:3], s[12:13]
	s_cbranch_execz .LBB14_35
; %bb.34:                               ;   in Loop: Header=BB14_15 Depth=1
	v_mov_b32_e32 v15, v17
	s_waitcnt lgkmcnt(0)
	v_mov_b32_e32 v16, v18
.LBB14_35:                              ;   in Loop: Header=BB14_15 Depth=1
	s_or_b64 exec, exec, s[2:3]
	v_and_b32_e32 v17, 31, v16
	v_cmp_eq_u32_e32 vcc, v17, v5
	s_and_saveexec_b64 s[2:3], vcc
	s_cbranch_execz .LBB14_14
; %bb.36:                               ;   in Loop: Header=BB14_15 Depth=1
	v_add_f32_e32 v17, v7, v15
	v_cndmask_b32_e64 v7, v7, v17, s[8:9]
	global_store_dword v[2:3], v16, off
	s_branch .LBB14_14
.LBB14_37:
	s_waitcnt lgkmcnt(0)
	s_and_b64 vcc, exec, s[8:9]
	s_cbranch_vccnz .LBB14_42
; %bb.38:
	s_andn2_b64 vcc, exec, s[0:1]
	v_cmp_gt_i32_e64 s[0:1], s5, v5
	s_cbranch_vccz .LBB14_43
.LBB14_39:
	v_cmp_gt_i32_e32 vcc, s5, v5
	s_and_b64 exec, exec, vcc
	s_cbranch_execz .LBB14_41
.LBB14_40:
	v_mul_lo_u32 v4, v4, s5
	v_mov_b32_e32 v2, s10
	v_mov_b32_e32 v3, s11
	v_ashrrev_i32_e32 v5, 31, v4
	v_lshl_add_u64 v[2:3], v[4:5], 2, v[2:3]
	v_mul_f32_e32 v4, s7, v1
	v_mov_b32_e32 v1, 0
	v_lshl_add_u64 v[0:1], v[2:3], 0, v[0:1]
	global_store_dword v[0:1], v4, off
.LBB14_41:
	s_endpgm
.LBB14_42:
	v_mbcnt_hi_u32_b32 v2, -1, v6
	v_and_b32_e32 v3, 0x60, v2
	v_add_u32_e32 v3, 32, v3
	v_xor_b32_e32 v8, 16, v2
	v_cmp_lt_i32_e32 vcc, v8, v3
	v_xor_b32_e32 v9, 8, v2
	s_nop 0
	v_cndmask_b32_e32 v8, v2, v8, vcc
	v_lshlrev_b32_e32 v8, 2, v8
	ds_bpermute_b32 v8, v8, v7
	v_cmp_lt_i32_e32 vcc, v9, v3
	s_waitcnt lgkmcnt(0)
	v_add_f32_e32 v7, v7, v8
	v_cndmask_b32_e32 v8, v2, v9, vcc
	v_lshlrev_b32_e32 v8, 2, v8
	ds_bpermute_b32 v8, v8, v7
	v_xor_b32_e32 v9, 4, v2
	v_cmp_lt_i32_e32 vcc, v9, v3
	s_waitcnt lgkmcnt(0)
	v_add_f32_e32 v7, v7, v8
	v_cndmask_b32_e32 v8, v2, v9, vcc
	v_lshlrev_b32_e32 v8, 2, v8
	ds_bpermute_b32 v8, v8, v7
	v_xor_b32_e32 v9, 2, v2
	;; [unrolled: 7-line block ×3, first 2 shown]
	v_cmp_lt_i32_e32 vcc, v9, v3
	v_max_f32_e64 v3, s6, s6
	s_waitcnt lgkmcnt(0)
	v_add_f32_e32 v7, v7, v8
	v_cndmask_b32_e32 v2, v2, v9, vcc
	v_lshlrev_b32_e32 v2, 2, v2
	ds_bpermute_b32 v2, v2, v7
	s_waitcnt lgkmcnt(0)
	v_add_f32_e32 v2, v7, v2
	v_max_f32_e32 v2, v2, v3
	v_div_scale_f32 v3, s[2:3], v2, v2, 1.0
	v_rcp_f32_e32 v7, v3
	v_div_scale_f32 v8, vcc, 1.0, v2, 1.0
	v_fma_f32 v9, -v3, v7, 1.0
	v_fmac_f32_e32 v7, v9, v7
	v_mul_f32_e32 v9, v8, v7
	v_fma_f32 v10, -v3, v9, v8
	v_fmac_f32_e32 v9, v10, v7
	v_fma_f32 v3, -v3, v9, v8
	v_div_fmas_f32 v3, v3, v7, v9
	v_div_fixup_f32 v2, v3, v2, 1.0
	v_mul_f32_e32 v1, v2, v1
	s_andn2_b64 vcc, exec, s[0:1]
	v_cmp_gt_i32_e64 s[0:1], s5, v5
	s_cbranch_vccnz .LBB14_39
.LBB14_43:
	v_max_f32_e32 v2, v1, v1
	v_max_f32_e32 v2, 0xff800000, v2
	v_mov_b32_e32 v3, 0xff800000
	v_cndmask_b32_e64 v2, v3, v2, s[0:1]
	v_mbcnt_hi_u32_b32 v3, -1, v6
	v_and_b32_e32 v6, 0x60, v3
	v_add_u32_e32 v6, 32, v6
	v_xor_b32_e32 v7, 16, v3
	v_cmp_lt_i32_e32 vcc, v7, v6
	s_mov_b32 s2, 0x3fb8aa3b
	s_nop 0
	v_cndmask_b32_e32 v7, v3, v7, vcc
	v_lshlrev_b32_e32 v7, 2, v7
	ds_bpermute_b32 v8, v7, v2
	s_waitcnt lgkmcnt(0)
	v_max_f32_e32 v8, v8, v8
	v_max_f32_e32 v2, v2, v8
	v_xor_b32_e32 v8, 8, v3
	v_cmp_lt_i32_e32 vcc, v8, v6
	s_nop 1
	v_cndmask_b32_e32 v8, v3, v8, vcc
	v_lshlrev_b32_e32 v8, 2, v8
	ds_bpermute_b32 v9, v8, v2
	s_waitcnt lgkmcnt(0)
	v_max_f32_e32 v9, v9, v9
	v_max_f32_e32 v2, v2, v9
	v_xor_b32_e32 v9, 4, v3
	v_cmp_lt_i32_e32 vcc, v9, v6
	;; [unrolled: 9-line block ×4, first 2 shown]
	s_nop 1
	v_cndmask_b32_e32 v3, v3, v11, vcc
	v_lshlrev_b32_e32 v6, 2, v3
	ds_bpermute_b32 v3, v6, v2
	s_waitcnt lgkmcnt(0)
	v_max_f32_e32 v3, v3, v3
	v_max_f32_e32 v2, v2, v3
	v_sub_f32_e32 v1, v1, v2
	v_mul_f32_e32 v2, 0x3fb8aa3b, v1
	v_fma_f32 v3, v1, s2, -v2
	v_rndne_f32_e32 v11, v2
	v_fmamk_f32 v3, v1, 0x32a5705f, v3
	v_sub_f32_e32 v2, v2, v11
	v_add_f32_e32 v2, v2, v3
	v_exp_f32_e32 v2, v2
	v_cvt_i32_f32_e32 v3, v11
	s_mov_b32 s2, 0xc2ce8ed0
	v_cmp_ngt_f32_e32 vcc, s2, v1
	s_mov_b32 s2, 0x42b17218
	v_ldexp_f32 v2, v2, v3
	v_cndmask_b32_e32 v2, 0, v2, vcc
	v_mov_b32_e32 v3, 0x7f800000
	v_cmp_nlt_f32_e32 vcc, s2, v1
	s_nop 1
	v_cndmask_b32_e32 v2, v3, v2, vcc
	v_cndmask_b32_e64 v1, 0, v2, s[0:1]
	ds_bpermute_b32 v3, v7, v1
	s_waitcnt lgkmcnt(0)
	v_add_f32_e32 v1, v1, v3
	ds_bpermute_b32 v3, v8, v1
	s_waitcnt lgkmcnt(0)
	v_add_f32_e32 v1, v1, v3
	;; [unrolled: 3-line block ×4, first 2 shown]
	ds_bpermute_b32 v6, v6, v3
	v_mov_b32_e32 v1, 0
	s_and_saveexec_b64 s[2:3], s[0:1]
	s_cbranch_execz .LBB14_45
; %bb.44:
	s_waitcnt lgkmcnt(0)
	v_add_f32_e32 v1, v3, v6
	v_div_scale_f32 v3, s[0:1], v1, v1, 1.0
	v_rcp_f32_e32 v6, v3
	v_div_scale_f32 v7, vcc, 1.0, v1, 1.0
	v_fma_f32 v8, -v3, v6, 1.0
	v_fmac_f32_e32 v6, v8, v6
	v_mul_f32_e32 v8, v7, v6
	v_fma_f32 v9, -v3, v8, v7
	v_fmac_f32_e32 v8, v9, v6
	v_fma_f32 v3, -v3, v8, v7
	v_div_fmas_f32 v3, v3, v6, v8
	v_div_fixup_f32 v1, v3, v1, 1.0
	v_mul_f32_e32 v1, v2, v1
.LBB14_45:
	s_or_b64 exec, exec, s[2:3]
	v_cmp_gt_i32_e32 vcc, s5, v5
	s_and_b64 exec, exec, vcc
	s_cbranch_execnz .LBB14_40
	s_branch .LBB14_41
	.section	.rodata,"a",@progbits
	.p2align	6, 0x0
	.amdhsa_kernel _Z13topk_moe_cudaILi8ELb0EEvPKfPfPiS2_iiff15topk_moe_config
		.amdhsa_group_segment_fixed_size 0
		.amdhsa_private_segment_fixed_size 0
		.amdhsa_kernarg_size 312
		.amdhsa_user_sgpr_count 2
		.amdhsa_user_sgpr_dispatch_ptr 0
		.amdhsa_user_sgpr_queue_ptr 0
		.amdhsa_user_sgpr_kernarg_segment_ptr 1
		.amdhsa_user_sgpr_dispatch_id 0
		.amdhsa_user_sgpr_kernarg_preload_length 0
		.amdhsa_user_sgpr_kernarg_preload_offset 0
		.amdhsa_user_sgpr_private_segment_size 0
		.amdhsa_uses_dynamic_stack 0
		.amdhsa_enable_private_segment 0
		.amdhsa_system_sgpr_workgroup_id_x 1
		.amdhsa_system_sgpr_workgroup_id_y 0
		.amdhsa_system_sgpr_workgroup_id_z 0
		.amdhsa_system_sgpr_workgroup_info 0
		.amdhsa_system_vgpr_workitem_id 1
		.amdhsa_next_free_vgpr 20
		.amdhsa_next_free_sgpr 16
		.amdhsa_accum_offset 20
		.amdhsa_reserve_vcc 1
		.amdhsa_float_round_mode_32 0
		.amdhsa_float_round_mode_16_64 0
		.amdhsa_float_denorm_mode_32 3
		.amdhsa_float_denorm_mode_16_64 3
		.amdhsa_dx10_clamp 1
		.amdhsa_ieee_mode 1
		.amdhsa_fp16_overflow 0
		.amdhsa_tg_split 0
		.amdhsa_exception_fp_ieee_invalid_op 0
		.amdhsa_exception_fp_denorm_src 0
		.amdhsa_exception_fp_ieee_div_zero 0
		.amdhsa_exception_fp_ieee_overflow 0
		.amdhsa_exception_fp_ieee_underflow 0
		.amdhsa_exception_fp_ieee_inexact 0
		.amdhsa_exception_int_div_zero 0
	.end_amdhsa_kernel
	.section	.text._Z13topk_moe_cudaILi8ELb0EEvPKfPfPiS2_iiff15topk_moe_config,"axG",@progbits,_Z13topk_moe_cudaILi8ELb0EEvPKfPfPiS2_iiff15topk_moe_config,comdat
.Lfunc_end14:
	.size	_Z13topk_moe_cudaILi8ELb0EEvPKfPfPiS2_iiff15topk_moe_config, .Lfunc_end14-_Z13topk_moe_cudaILi8ELb0EEvPKfPfPiS2_iiff15topk_moe_config
                                        ; -- End function
	.set _Z13topk_moe_cudaILi8ELb0EEvPKfPfPiS2_iiff15topk_moe_config.num_vgpr, 20
	.set _Z13topk_moe_cudaILi8ELb0EEvPKfPfPiS2_iiff15topk_moe_config.num_agpr, 0
	.set _Z13topk_moe_cudaILi8ELb0EEvPKfPfPiS2_iiff15topk_moe_config.numbered_sgpr, 16
	.set _Z13topk_moe_cudaILi8ELb0EEvPKfPfPiS2_iiff15topk_moe_config.num_named_barrier, 0
	.set _Z13topk_moe_cudaILi8ELb0EEvPKfPfPiS2_iiff15topk_moe_config.private_seg_size, 0
	.set _Z13topk_moe_cudaILi8ELb0EEvPKfPfPiS2_iiff15topk_moe_config.uses_vcc, 1
	.set _Z13topk_moe_cudaILi8ELb0EEvPKfPfPiS2_iiff15topk_moe_config.uses_flat_scratch, 0
	.set _Z13topk_moe_cudaILi8ELb0EEvPKfPfPiS2_iiff15topk_moe_config.has_dyn_sized_stack, 0
	.set _Z13topk_moe_cudaILi8ELb0EEvPKfPfPiS2_iiff15topk_moe_config.has_recursion, 0
	.set _Z13topk_moe_cudaILi8ELb0EEvPKfPfPiS2_iiff15topk_moe_config.has_indirect_call, 0
	.section	.AMDGPU.csdata,"",@progbits
; Kernel info:
; codeLenInByte = 2700
; TotalNumSgprs: 22
; NumVgprs: 20
; NumAgprs: 0
; TotalNumVgprs: 20
; ScratchSize: 0
; MemoryBound: 0
; FloatMode: 240
; IeeeMode: 1
; LDSByteSize: 0 bytes/workgroup (compile time only)
; SGPRBlocks: 2
; VGPRBlocks: 2
; NumSGPRsForWavesPerEU: 22
; NumVGPRsForWavesPerEU: 20
; AccumOffset: 20
; Occupancy: 8
; WaveLimiterHint : 0
; COMPUTE_PGM_RSRC2:SCRATCH_EN: 0
; COMPUTE_PGM_RSRC2:USER_SGPR: 2
; COMPUTE_PGM_RSRC2:TRAP_HANDLER: 0
; COMPUTE_PGM_RSRC2:TGID_X_EN: 1
; COMPUTE_PGM_RSRC2:TGID_Y_EN: 0
; COMPUTE_PGM_RSRC2:TGID_Z_EN: 0
; COMPUTE_PGM_RSRC2:TIDIG_COMP_CNT: 1
; COMPUTE_PGM_RSRC3_GFX90A:ACCUM_OFFSET: 4
; COMPUTE_PGM_RSRC3_GFX90A:TG_SPLIT: 0
	.section	.text._Z13topk_moe_cudaILi16ELb0EEvPKfPfPiS2_iiff15topk_moe_config,"axG",@progbits,_Z13topk_moe_cudaILi16ELb0EEvPKfPfPiS2_iiff15topk_moe_config,comdat
	.protected	_Z13topk_moe_cudaILi16ELb0EEvPKfPfPiS2_iiff15topk_moe_config ; -- Begin function _Z13topk_moe_cudaILi16ELb0EEvPKfPfPiS2_iiff15topk_moe_config
	.globl	_Z13topk_moe_cudaILi16ELb0EEvPKfPfPiS2_iiff15topk_moe_config
	.p2align	8
	.type	_Z13topk_moe_cudaILi16ELb0EEvPKfPfPiS2_iiff15topk_moe_config,@function
_Z13topk_moe_cudaILi16ELb0EEvPKfPfPiS2_iiff15topk_moe_config: ; @_Z13topk_moe_cudaILi16ELb0EEvPKfPfPiS2_iiff15topk_moe_config
; %bb.0:
	s_load_dword s3, s[0:1], 0x44
	s_load_dwordx4 s[4:7], s[0:1], 0x20
	v_bfe_u32 v1, v0, 10, 10
	s_waitcnt lgkmcnt(0)
	s_lshr_b32 s3, s3, 16
	s_mul_i32 s2, s2, s3
	v_add_u32_e32 v4, s2, v1
	v_cmp_gt_i32_e32 vcc, s4, v4
	s_and_saveexec_b64 s[2:3], vcc
	s_cbranch_execz .LBB15_41
; %bb.1:
	v_mov_b32_e32 v1, 0
	global_load_ushort v6, v1, s[0:1] offset:48
	global_load_sbyte v7, v1, s[0:1] offset:50
	s_load_dwordx4 s[8:11], s[0:1], 0x0
	s_load_dwordx2 s[2:3], s[0:1], 0x10
	v_lshlrev_b32_e32 v2, 4, v4
	v_and_b32_e32 v5, 0x3ff, v0
	v_mov_b32_e32 v8, 0xff800000
	v_ashrrev_i32_e32 v3, 31, v2
	v_cmp_gt_u32_e32 vcc, 16, v5
	v_lshlrev_b32_e32 v0, 2, v5
	s_waitcnt vmcnt(1)
	v_readfirstlane_b32 s4, v6
	s_and_saveexec_b64 s[0:1], vcc
	s_cbranch_execz .LBB15_3
; %bb.2:
	s_waitcnt lgkmcnt(0)
	v_mov_b32_e32 v8, s8
	v_mov_b32_e32 v9, s9
	v_lshl_add_u64 v[8:9], v[2:3], 2, v[8:9]
	v_lshl_add_u64 v[8:9], v[8:9], 0, v[0:1]
	global_load_dword v8, v[8:9], off
.LBB15_3:
	s_or_b64 exec, exec, s[0:1]
	s_waitcnt vmcnt(0)
	v_and_b32_e32 v1, 1, v7
	v_cmp_eq_u32_e64 s[0:1], 1, v1
	s_and_b64 vcc, exec, s[0:1]
	s_cbranch_vccnz .LBB15_9
; %bb.4:
	v_and_b32_e32 v1, 1, v6
	v_cmp_eq_u32_e32 vcc, 0, v1
	s_cbranch_vccz .LBB15_6
; %bb.5:
	v_mbcnt_lo_u32_b32 v6, -1, 0
	v_mbcnt_hi_u32_b32 v6, -1, v6
	v_and_b32_e32 v7, 0x60, v6
	v_add_u32_e32 v7, 32, v7
	v_xor_b32_e32 v9, 16, v6
	v_cmp_lt_i32_e32 vcc, v9, v7
	v_max_f32_e32 v1, v8, v8
	v_max_f32_e32 v1, 0xff800000, v1
	v_cndmask_b32_e32 v9, v6, v9, vcc
	v_lshlrev_b32_e32 v9, 2, v9
	ds_bpermute_b32 v10, v9, v1
	s_waitcnt lgkmcnt(0)
	s_mov_b32 s8, 0x3fb8aa3b
	v_max_f32_e32 v10, v10, v10
	v_max_f32_e32 v1, v1, v10
	v_xor_b32_e32 v10, 8, v6
	v_cmp_lt_i32_e32 vcc, v10, v7
	s_nop 1
	v_cndmask_b32_e32 v10, v6, v10, vcc
	v_lshlrev_b32_e32 v10, 2, v10
	ds_bpermute_b32 v11, v10, v1
	s_waitcnt lgkmcnt(0)
	v_max_f32_e32 v11, v11, v11
	v_max_f32_e32 v1, v1, v11
	v_xor_b32_e32 v11, 4, v6
	v_cmp_lt_i32_e32 vcc, v11, v7
	s_nop 1
	v_cndmask_b32_e32 v11, v6, v11, vcc
	v_lshlrev_b32_e32 v11, 2, v11
	ds_bpermute_b32 v12, v11, v1
	s_waitcnt lgkmcnt(0)
	;; [unrolled: 9-line block ×4, first 2 shown]
	v_max_f32_e32 v7, v7, v7
	v_max_f32_e32 v1, v1, v7
	v_sub_f32_e32 v1, v8, v1
	v_mul_f32_e32 v7, 0x3fb8aa3b, v1
	v_fma_f32 v13, v1, s8, -v7
	v_rndne_f32_e32 v14, v7
	v_fmamk_f32 v13, v1, 0x32a5705f, v13
	v_sub_f32_e32 v7, v7, v14
	v_add_f32_e32 v7, v7, v13
	v_exp_f32_e32 v7, v7
	v_cvt_i32_f32_e32 v13, v14
	s_mov_b32 s8, 0xc2ce8ed0
	v_cmp_ngt_f32_e32 vcc, s8, v1
	s_mov_b32 s8, 0x42b17218
	v_ldexp_f32 v7, v7, v13
	v_cndmask_b32_e32 v7, 0, v7, vcc
	v_mov_b32_e32 v13, 0x7f800000
	v_cmp_nlt_f32_e32 vcc, s8, v1
	s_nop 1
	v_cndmask_b32_e32 v1, v13, v7, vcc
	ds_bpermute_b32 v7, v9, v1
	s_waitcnt lgkmcnt(0)
	v_add_f32_e32 v7, v1, v7
	ds_bpermute_b32 v9, v10, v7
	s_waitcnt lgkmcnt(0)
	v_add_f32_e32 v7, v7, v9
	;; [unrolled: 3-line block ×5, first 2 shown]
	v_div_scale_f32 v7, s[8:9], v6, v6, 1.0
	v_rcp_f32_e32 v9, v7
	v_div_scale_f32 v10, vcc, 1.0, v6, 1.0
	v_fma_f32 v11, -v7, v9, 1.0
	v_fmac_f32_e32 v9, v11, v9
	v_mul_f32_e32 v11, v10, v9
	v_fma_f32 v12, -v7, v11, v10
	v_fmac_f32_e32 v11, v12, v9
	v_fma_f32 v7, -v7, v11, v10
	v_div_fmas_f32 v7, v7, v9, v11
	v_div_fixup_f32 v6, v7, v6, 1.0
	v_mul_f32_e32 v1, v1, v6
	s_cbranch_execz .LBB15_7
	s_branch .LBB15_8
.LBB15_6:
	s_waitcnt lgkmcnt(0)
                                        ; implicit-def: $vgpr1
.LBB15_7:
	v_mul_f32_e32 v1, 0xbfb8aa3b, v8
	s_mov_b32 s8, 0xbfb8aa3b
	v_rndne_f32_e32 v6, v1
	v_sub_f32_e32 v7, v1, v6
	v_fma_f32 v1, v8, s8, -v1
	v_fmamk_f32 v1, v8, 0xb2a5705f, v1
	v_add_f32_e32 v1, v7, v1
	v_exp_f32_e32 v1, v1
	v_cvt_i32_f32_e32 v6, v6
	s_mov_b32 s8, 0x42ce8ed0
	v_cmp_nlt_f32_e32 vcc, s8, v8
	s_mov_b32 s8, 0xc2b17218
	v_ldexp_f32 v1, v1, v6
	v_cndmask_b32_e32 v1, 0, v1, vcc
	v_mov_b32_e32 v6, 0x7f800000
	v_cmp_ngt_f32_e32 vcc, s8, v8
	s_nop 1
	v_cndmask_b32_e32 v1, v6, v1, vcc
	v_add_f32_e32 v1, 1.0, v1
	v_div_scale_f32 v6, s[8:9], v1, v1, 1.0
	v_rcp_f32_e32 v7, v6
	s_nop 0
	v_fma_f32 v8, -v6, v7, 1.0
	v_fmac_f32_e32 v7, v8, v7
	v_div_scale_f32 v8, vcc, 1.0, v1, 1.0
	v_mul_f32_e32 v9, v8, v7
	v_fma_f32 v10, -v6, v9, v8
	v_fmac_f32_e32 v9, v10, v7
	v_fma_f32 v6, -v6, v9, v8
	v_div_fmas_f32 v6, v6, v7, v9
	v_div_fixup_f32 v1, v6, v1, 1.0
.LBB15_8:
	v_mov_b32_e32 v8, v1
.LBB15_9:
	s_lshr_b32 s14, s4, 8
	s_cmp_gt_i32 s5, 0
	s_cbranch_scc1 .LBB15_11
; %bb.10:
	s_bitcmp1_b32 s14, 0
	s_mov_b64 s[12:13], 0
	s_waitcnt lgkmcnt(0)
	s_cselect_b64 s[8:9], -1, 0
	s_branch .LBB15_12
.LBB15_11:
	s_mov_b64 s[12:13], -1
                                        ; implicit-def: $sgpr8_sgpr9
.LBB15_12:
	v_mov_b32_e32 v7, 0
	s_andn2_b64 vcc, exec, s[12:13]
	v_mbcnt_lo_u32_b32 v6, -1, 0
	v_mov_b32_e32 v1, 0
	s_cbranch_vccnz .LBB15_37
; %bb.13:
	v_mov_b32_e32 v1, 0xff7fffff
	v_cmp_o_f32_e32 vcc, v8, v8
	s_waitcnt lgkmcnt(0)
	v_mov_b32_e32 v10, s2
	v_mov_b32_e32 v11, s3
	v_cndmask_b32_e32 v8, v1, v8, vcc
	v_mbcnt_hi_u32_b32 v1, -1, v6
	v_and_b32_e32 v7, 0x60, v1
	v_add_u32_e32 v7, 32, v7
	v_xor_b32_e32 v9, 16, v1
	v_lshl_add_u64 v[2:3], v[2:3], 2, v[10:11]
	v_cmp_lt_i32_e32 vcc, v9, v7
	v_xor_b32_e32 v10, 8, v1
	v_xor_b32_e32 v11, 4, v1
	v_cndmask_b32_e32 v9, v1, v9, vcc
	v_cmp_lt_i32_e32 vcc, v10, v7
	v_xor_b32_e32 v12, 2, v1
	v_xor_b32_e32 v13, 1, v1
	v_cndmask_b32_e32 v10, v1, v10, vcc
	v_cmp_lt_i32_e32 vcc, v11, v7
	s_bitcmp1_b32 s14, 0
	s_mov_b32 s4, 0
	v_cndmask_b32_e32 v11, v1, v11, vcc
	v_cmp_lt_i32_e32 vcc, v12, v7
	s_cselect_b64 s[8:9], -1, 0
	v_lshlrev_b32_e32 v9, 2, v9
	v_cndmask_b32_e32 v12, v1, v12, vcc
	v_cmp_lt_i32_e32 vcc, v13, v7
	v_lshlrev_b32_e32 v10, 2, v10
	v_lshlrev_b32_e32 v11, 2, v11
	v_cndmask_b32_e32 v1, v1, v13, vcc
	v_lshlrev_b32_e32 v12, 2, v12
	v_lshlrev_b32_e32 v13, 2, v1
	v_mov_b32_e32 v7, 0
	v_mov_b32_e32 v14, 0xff800000
	;; [unrolled: 1-line block ×3, first 2 shown]
	s_branch .LBB15_15
.LBB15_14:                              ;   in Loop: Header=BB15_15 Depth=1
	s_or_b64 exec, exec, s[2:3]
	s_and_b32 s2, s4, 31
	v_cndmask_b32_e32 v8, v8, v14, vcc
	v_cmp_eq_u32_e32 vcc, s2, v5
	s_add_i32 s4, s4, 1
	s_cmp_eq_u32 s5, s4
	v_cndmask_b32_e32 v1, v1, v15, vcc
	v_lshl_add_u64 v[2:3], v[2:3], 0, 4
	s_cbranch_scc1 .LBB15_37
.LBB15_15:                              ; =>This Inner Loop Header: Depth=1
	s_waitcnt lgkmcnt(0)
	ds_bpermute_b32 v18, v9, v8
	ds_bpermute_b32 v19, v9, v5
	s_waitcnt lgkmcnt(1)
	v_cmp_lt_f32_e64 s[12:13], v8, v18
	v_cmp_nlt_f32_e32 vcc, v8, v18
	s_and_saveexec_b64 s[14:15], vcc
	s_cbranch_execz .LBB15_17
; %bb.16:                               ;   in Loop: Header=BB15_15 Depth=1
	v_cmp_eq_f32_e32 vcc, v8, v18
	s_waitcnt lgkmcnt(0)
	v_cmp_lt_i32_e64 s[2:3], v19, v5
	s_and_b64 s[2:3], vcc, s[2:3]
	s_andn2_b64 s[12:13], s[12:13], exec
	s_and_b64 s[2:3], s[2:3], exec
	s_or_b64 s[12:13], s[12:13], s[2:3]
.LBB15_17:                              ;   in Loop: Header=BB15_15 Depth=1
	s_or_b64 exec, exec, s[14:15]
	v_mov_b32_e32 v17, v8
	v_mov_b32_e32 v15, v8
	;; [unrolled: 1-line block ×3, first 2 shown]
	s_and_saveexec_b64 s[2:3], s[12:13]
	s_cbranch_execz .LBB15_19
; %bb.18:                               ;   in Loop: Header=BB15_15 Depth=1
	v_mov_b32_e32 v17, v18
	v_mov_b32_e32 v15, v18
	s_waitcnt lgkmcnt(0)
	v_mov_b32_e32 v16, v19
.LBB15_19:                              ;   in Loop: Header=BB15_15 Depth=1
	s_or_b64 exec, exec, s[2:3]
	ds_bpermute_b32 v18, v10, v17
	s_waitcnt lgkmcnt(1)
	ds_bpermute_b32 v19, v10, v16
	s_waitcnt lgkmcnt(1)
	v_cmp_lt_f32_e64 s[12:13], v15, v18
	v_cmp_nlt_f32_e32 vcc, v15, v18
	s_and_saveexec_b64 s[14:15], vcc
	s_cbranch_execz .LBB15_21
; %bb.20:                               ;   in Loop: Header=BB15_15 Depth=1
	v_cmp_eq_f32_e32 vcc, v15, v18
	s_waitcnt lgkmcnt(0)
	v_cmp_lt_i32_e64 s[2:3], v19, v16
	s_and_b64 s[2:3], vcc, s[2:3]
	s_andn2_b64 s[12:13], s[12:13], exec
	s_and_b64 s[2:3], s[2:3], exec
	s_or_b64 s[12:13], s[12:13], s[2:3]
.LBB15_21:                              ;   in Loop: Header=BB15_15 Depth=1
	s_or_b64 exec, exec, s[14:15]
	s_and_saveexec_b64 s[2:3], s[12:13]
	s_cbranch_execz .LBB15_23
; %bb.22:                               ;   in Loop: Header=BB15_15 Depth=1
	v_mov_b32_e32 v17, v18
	v_mov_b32_e32 v15, v18
	s_waitcnt lgkmcnt(0)
	v_mov_b32_e32 v16, v19
.LBB15_23:                              ;   in Loop: Header=BB15_15 Depth=1
	s_or_b64 exec, exec, s[2:3]
	ds_bpermute_b32 v18, v11, v17
	s_waitcnt lgkmcnt(1)
	ds_bpermute_b32 v19, v11, v16
	s_waitcnt lgkmcnt(1)
	v_cmp_lt_f32_e64 s[12:13], v15, v18
	v_cmp_nlt_f32_e32 vcc, v15, v18
	s_and_saveexec_b64 s[14:15], vcc
	s_cbranch_execz .LBB15_25
; %bb.24:                               ;   in Loop: Header=BB15_15 Depth=1
	v_cmp_eq_f32_e32 vcc, v15, v18
	s_waitcnt lgkmcnt(0)
	v_cmp_lt_i32_e64 s[2:3], v19, v16
	s_and_b64 s[2:3], vcc, s[2:3]
	s_andn2_b64 s[12:13], s[12:13], exec
	s_and_b64 s[2:3], s[2:3], exec
	s_or_b64 s[12:13], s[12:13], s[2:3]
.LBB15_25:                              ;   in Loop: Header=BB15_15 Depth=1
	s_or_b64 exec, exec, s[14:15]
	s_and_saveexec_b64 s[2:3], s[12:13]
	s_cbranch_execz .LBB15_27
; %bb.26:                               ;   in Loop: Header=BB15_15 Depth=1
	v_mov_b32_e32 v17, v18
	v_mov_b32_e32 v15, v18
	s_waitcnt lgkmcnt(0)
	v_mov_b32_e32 v16, v19
.LBB15_27:                              ;   in Loop: Header=BB15_15 Depth=1
	s_or_b64 exec, exec, s[2:3]
	ds_bpermute_b32 v18, v12, v17
	s_waitcnt lgkmcnt(1)
	ds_bpermute_b32 v19, v12, v16
	s_waitcnt lgkmcnt(1)
	v_cmp_lt_f32_e64 s[12:13], v15, v18
	v_cmp_nlt_f32_e32 vcc, v15, v18
	s_and_saveexec_b64 s[14:15], vcc
	s_cbranch_execz .LBB15_29
; %bb.28:                               ;   in Loop: Header=BB15_15 Depth=1
	v_cmp_eq_f32_e32 vcc, v15, v18
	s_waitcnt lgkmcnt(0)
	v_cmp_lt_i32_e64 s[2:3], v19, v16
	s_and_b64 s[2:3], vcc, s[2:3]
	s_andn2_b64 s[12:13], s[12:13], exec
	s_and_b64 s[2:3], s[2:3], exec
	s_or_b64 s[12:13], s[12:13], s[2:3]
.LBB15_29:                              ;   in Loop: Header=BB15_15 Depth=1
	s_or_b64 exec, exec, s[14:15]
	s_and_saveexec_b64 s[2:3], s[12:13]
	s_cbranch_execz .LBB15_31
; %bb.30:                               ;   in Loop: Header=BB15_15 Depth=1
	v_mov_b32_e32 v17, v18
	v_mov_b32_e32 v15, v18
	s_waitcnt lgkmcnt(0)
	v_mov_b32_e32 v16, v19
.LBB15_31:                              ;   in Loop: Header=BB15_15 Depth=1
	s_or_b64 exec, exec, s[2:3]
	ds_bpermute_b32 v17, v13, v17
	ds_bpermute_b32 v18, v13, v16
	s_waitcnt lgkmcnt(1)
	v_cmp_lt_f32_e64 s[12:13], v15, v17
	v_cmp_nlt_f32_e32 vcc, v15, v17
	s_and_saveexec_b64 s[14:15], vcc
	s_cbranch_execz .LBB15_33
; %bb.32:                               ;   in Loop: Header=BB15_15 Depth=1
	v_cmp_eq_f32_e32 vcc, v15, v17
	s_waitcnt lgkmcnt(0)
	v_cmp_lt_i32_e64 s[2:3], v18, v16
	s_and_b64 s[2:3], vcc, s[2:3]
	s_andn2_b64 s[12:13], s[12:13], exec
	s_and_b64 s[2:3], s[2:3], exec
	s_or_b64 s[12:13], s[12:13], s[2:3]
.LBB15_33:                              ;   in Loop: Header=BB15_15 Depth=1
	s_or_b64 exec, exec, s[14:15]
	s_and_saveexec_b64 s[2:3], s[12:13]
	s_cbranch_execz .LBB15_35
; %bb.34:                               ;   in Loop: Header=BB15_15 Depth=1
	v_mov_b32_e32 v15, v17
	s_waitcnt lgkmcnt(0)
	v_mov_b32_e32 v16, v18
.LBB15_35:                              ;   in Loop: Header=BB15_15 Depth=1
	s_or_b64 exec, exec, s[2:3]
	v_and_b32_e32 v17, 31, v16
	v_cmp_eq_u32_e32 vcc, v17, v5
	s_and_saveexec_b64 s[2:3], vcc
	s_cbranch_execz .LBB15_14
; %bb.36:                               ;   in Loop: Header=BB15_15 Depth=1
	v_add_f32_e32 v17, v7, v15
	v_cndmask_b32_e64 v7, v7, v17, s[8:9]
	global_store_dword v[2:3], v16, off
	s_branch .LBB15_14
.LBB15_37:
	s_waitcnt lgkmcnt(0)
	s_and_b64 vcc, exec, s[8:9]
	s_cbranch_vccnz .LBB15_42
; %bb.38:
	s_andn2_b64 vcc, exec, s[0:1]
	v_cmp_gt_i32_e64 s[0:1], s5, v5
	s_cbranch_vccz .LBB15_43
.LBB15_39:
	v_cmp_gt_i32_e32 vcc, s5, v5
	s_and_b64 exec, exec, vcc
	s_cbranch_execz .LBB15_41
.LBB15_40:
	v_mul_lo_u32 v4, v4, s5
	v_mov_b32_e32 v2, s10
	v_mov_b32_e32 v3, s11
	v_ashrrev_i32_e32 v5, 31, v4
	v_lshl_add_u64 v[2:3], v[4:5], 2, v[2:3]
	v_mul_f32_e32 v4, s7, v1
	v_mov_b32_e32 v1, 0
	v_lshl_add_u64 v[0:1], v[2:3], 0, v[0:1]
	global_store_dword v[0:1], v4, off
.LBB15_41:
	s_endpgm
.LBB15_42:
	v_mbcnt_hi_u32_b32 v2, -1, v6
	v_and_b32_e32 v3, 0x60, v2
	v_add_u32_e32 v3, 32, v3
	v_xor_b32_e32 v8, 16, v2
	v_cmp_lt_i32_e32 vcc, v8, v3
	v_xor_b32_e32 v9, 8, v2
	s_nop 0
	v_cndmask_b32_e32 v8, v2, v8, vcc
	v_lshlrev_b32_e32 v8, 2, v8
	ds_bpermute_b32 v8, v8, v7
	v_cmp_lt_i32_e32 vcc, v9, v3
	s_waitcnt lgkmcnt(0)
	v_add_f32_e32 v7, v7, v8
	v_cndmask_b32_e32 v8, v2, v9, vcc
	v_lshlrev_b32_e32 v8, 2, v8
	ds_bpermute_b32 v8, v8, v7
	v_xor_b32_e32 v9, 4, v2
	v_cmp_lt_i32_e32 vcc, v9, v3
	s_waitcnt lgkmcnt(0)
	v_add_f32_e32 v7, v7, v8
	v_cndmask_b32_e32 v8, v2, v9, vcc
	v_lshlrev_b32_e32 v8, 2, v8
	ds_bpermute_b32 v8, v8, v7
	v_xor_b32_e32 v9, 2, v2
	;; [unrolled: 7-line block ×3, first 2 shown]
	v_cmp_lt_i32_e32 vcc, v9, v3
	v_max_f32_e64 v3, s6, s6
	s_waitcnt lgkmcnt(0)
	v_add_f32_e32 v7, v7, v8
	v_cndmask_b32_e32 v2, v2, v9, vcc
	v_lshlrev_b32_e32 v2, 2, v2
	ds_bpermute_b32 v2, v2, v7
	s_waitcnt lgkmcnt(0)
	v_add_f32_e32 v2, v7, v2
	v_max_f32_e32 v2, v2, v3
	v_div_scale_f32 v3, s[2:3], v2, v2, 1.0
	v_rcp_f32_e32 v7, v3
	v_div_scale_f32 v8, vcc, 1.0, v2, 1.0
	v_fma_f32 v9, -v3, v7, 1.0
	v_fmac_f32_e32 v7, v9, v7
	v_mul_f32_e32 v9, v8, v7
	v_fma_f32 v10, -v3, v9, v8
	v_fmac_f32_e32 v9, v10, v7
	v_fma_f32 v3, -v3, v9, v8
	v_div_fmas_f32 v3, v3, v7, v9
	v_div_fixup_f32 v2, v3, v2, 1.0
	v_mul_f32_e32 v1, v2, v1
	s_andn2_b64 vcc, exec, s[0:1]
	v_cmp_gt_i32_e64 s[0:1], s5, v5
	s_cbranch_vccnz .LBB15_39
.LBB15_43:
	v_max_f32_e32 v2, v1, v1
	v_max_f32_e32 v2, 0xff800000, v2
	v_mov_b32_e32 v3, 0xff800000
	v_cndmask_b32_e64 v2, v3, v2, s[0:1]
	v_mbcnt_hi_u32_b32 v3, -1, v6
	v_and_b32_e32 v6, 0x60, v3
	v_add_u32_e32 v6, 32, v6
	v_xor_b32_e32 v7, 16, v3
	v_cmp_lt_i32_e32 vcc, v7, v6
	s_mov_b32 s2, 0x3fb8aa3b
	s_nop 0
	v_cndmask_b32_e32 v7, v3, v7, vcc
	v_lshlrev_b32_e32 v7, 2, v7
	ds_bpermute_b32 v8, v7, v2
	s_waitcnt lgkmcnt(0)
	v_max_f32_e32 v8, v8, v8
	v_max_f32_e32 v2, v2, v8
	v_xor_b32_e32 v8, 8, v3
	v_cmp_lt_i32_e32 vcc, v8, v6
	s_nop 1
	v_cndmask_b32_e32 v8, v3, v8, vcc
	v_lshlrev_b32_e32 v8, 2, v8
	ds_bpermute_b32 v9, v8, v2
	s_waitcnt lgkmcnt(0)
	v_max_f32_e32 v9, v9, v9
	v_max_f32_e32 v2, v2, v9
	v_xor_b32_e32 v9, 4, v3
	v_cmp_lt_i32_e32 vcc, v9, v6
	;; [unrolled: 9-line block ×4, first 2 shown]
	s_nop 1
	v_cndmask_b32_e32 v3, v3, v11, vcc
	v_lshlrev_b32_e32 v6, 2, v3
	ds_bpermute_b32 v3, v6, v2
	s_waitcnt lgkmcnt(0)
	v_max_f32_e32 v3, v3, v3
	v_max_f32_e32 v2, v2, v3
	v_sub_f32_e32 v1, v1, v2
	v_mul_f32_e32 v2, 0x3fb8aa3b, v1
	v_fma_f32 v3, v1, s2, -v2
	v_rndne_f32_e32 v11, v2
	v_fmamk_f32 v3, v1, 0x32a5705f, v3
	v_sub_f32_e32 v2, v2, v11
	v_add_f32_e32 v2, v2, v3
	v_exp_f32_e32 v2, v2
	v_cvt_i32_f32_e32 v3, v11
	s_mov_b32 s2, 0xc2ce8ed0
	v_cmp_ngt_f32_e32 vcc, s2, v1
	s_mov_b32 s2, 0x42b17218
	v_ldexp_f32 v2, v2, v3
	v_cndmask_b32_e32 v2, 0, v2, vcc
	v_mov_b32_e32 v3, 0x7f800000
	v_cmp_nlt_f32_e32 vcc, s2, v1
	s_nop 1
	v_cndmask_b32_e32 v2, v3, v2, vcc
	v_cndmask_b32_e64 v1, 0, v2, s[0:1]
	ds_bpermute_b32 v3, v7, v1
	s_waitcnt lgkmcnt(0)
	v_add_f32_e32 v1, v1, v3
	ds_bpermute_b32 v3, v8, v1
	s_waitcnt lgkmcnt(0)
	v_add_f32_e32 v1, v1, v3
	;; [unrolled: 3-line block ×4, first 2 shown]
	ds_bpermute_b32 v6, v6, v3
	v_mov_b32_e32 v1, 0
	s_and_saveexec_b64 s[2:3], s[0:1]
	s_cbranch_execz .LBB15_45
; %bb.44:
	s_waitcnt lgkmcnt(0)
	v_add_f32_e32 v1, v3, v6
	v_div_scale_f32 v3, s[0:1], v1, v1, 1.0
	v_rcp_f32_e32 v6, v3
	v_div_scale_f32 v7, vcc, 1.0, v1, 1.0
	v_fma_f32 v8, -v3, v6, 1.0
	v_fmac_f32_e32 v6, v8, v6
	v_mul_f32_e32 v8, v7, v6
	v_fma_f32 v9, -v3, v8, v7
	v_fmac_f32_e32 v8, v9, v6
	v_fma_f32 v3, -v3, v8, v7
	v_div_fmas_f32 v3, v3, v6, v8
	v_div_fixup_f32 v1, v3, v1, 1.0
	v_mul_f32_e32 v1, v2, v1
.LBB15_45:
	s_or_b64 exec, exec, s[2:3]
	v_cmp_gt_i32_e32 vcc, s5, v5
	s_and_b64 exec, exec, vcc
	s_cbranch_execnz .LBB15_40
	s_branch .LBB15_41
	.section	.rodata,"a",@progbits
	.p2align	6, 0x0
	.amdhsa_kernel _Z13topk_moe_cudaILi16ELb0EEvPKfPfPiS2_iiff15topk_moe_config
		.amdhsa_group_segment_fixed_size 0
		.amdhsa_private_segment_fixed_size 0
		.amdhsa_kernarg_size 312
		.amdhsa_user_sgpr_count 2
		.amdhsa_user_sgpr_dispatch_ptr 0
		.amdhsa_user_sgpr_queue_ptr 0
		.amdhsa_user_sgpr_kernarg_segment_ptr 1
		.amdhsa_user_sgpr_dispatch_id 0
		.amdhsa_user_sgpr_kernarg_preload_length 0
		.amdhsa_user_sgpr_kernarg_preload_offset 0
		.amdhsa_user_sgpr_private_segment_size 0
		.amdhsa_uses_dynamic_stack 0
		.amdhsa_enable_private_segment 0
		.amdhsa_system_sgpr_workgroup_id_x 1
		.amdhsa_system_sgpr_workgroup_id_y 0
		.amdhsa_system_sgpr_workgroup_id_z 0
		.amdhsa_system_sgpr_workgroup_info 0
		.amdhsa_system_vgpr_workitem_id 1
		.amdhsa_next_free_vgpr 20
		.amdhsa_next_free_sgpr 16
		.amdhsa_accum_offset 20
		.amdhsa_reserve_vcc 1
		.amdhsa_float_round_mode_32 0
		.amdhsa_float_round_mode_16_64 0
		.amdhsa_float_denorm_mode_32 3
		.amdhsa_float_denorm_mode_16_64 3
		.amdhsa_dx10_clamp 1
		.amdhsa_ieee_mode 1
		.amdhsa_fp16_overflow 0
		.amdhsa_tg_split 0
		.amdhsa_exception_fp_ieee_invalid_op 0
		.amdhsa_exception_fp_denorm_src 0
		.amdhsa_exception_fp_ieee_div_zero 0
		.amdhsa_exception_fp_ieee_overflow 0
		.amdhsa_exception_fp_ieee_underflow 0
		.amdhsa_exception_fp_ieee_inexact 0
		.amdhsa_exception_int_div_zero 0
	.end_amdhsa_kernel
	.section	.text._Z13topk_moe_cudaILi16ELb0EEvPKfPfPiS2_iiff15topk_moe_config,"axG",@progbits,_Z13topk_moe_cudaILi16ELb0EEvPKfPfPiS2_iiff15topk_moe_config,comdat
.Lfunc_end15:
	.size	_Z13topk_moe_cudaILi16ELb0EEvPKfPfPiS2_iiff15topk_moe_config, .Lfunc_end15-_Z13topk_moe_cudaILi16ELb0EEvPKfPfPiS2_iiff15topk_moe_config
                                        ; -- End function
	.set _Z13topk_moe_cudaILi16ELb0EEvPKfPfPiS2_iiff15topk_moe_config.num_vgpr, 20
	.set _Z13topk_moe_cudaILi16ELb0EEvPKfPfPiS2_iiff15topk_moe_config.num_agpr, 0
	.set _Z13topk_moe_cudaILi16ELb0EEvPKfPfPiS2_iiff15topk_moe_config.numbered_sgpr, 16
	.set _Z13topk_moe_cudaILi16ELb0EEvPKfPfPiS2_iiff15topk_moe_config.num_named_barrier, 0
	.set _Z13topk_moe_cudaILi16ELb0EEvPKfPfPiS2_iiff15topk_moe_config.private_seg_size, 0
	.set _Z13topk_moe_cudaILi16ELb0EEvPKfPfPiS2_iiff15topk_moe_config.uses_vcc, 1
	.set _Z13topk_moe_cudaILi16ELb0EEvPKfPfPiS2_iiff15topk_moe_config.uses_flat_scratch, 0
	.set _Z13topk_moe_cudaILi16ELb0EEvPKfPfPiS2_iiff15topk_moe_config.has_dyn_sized_stack, 0
	.set _Z13topk_moe_cudaILi16ELb0EEvPKfPfPiS2_iiff15topk_moe_config.has_recursion, 0
	.set _Z13topk_moe_cudaILi16ELb0EEvPKfPfPiS2_iiff15topk_moe_config.has_indirect_call, 0
	.section	.AMDGPU.csdata,"",@progbits
; Kernel info:
; codeLenInByte = 2700
; TotalNumSgprs: 22
; NumVgprs: 20
; NumAgprs: 0
; TotalNumVgprs: 20
; ScratchSize: 0
; MemoryBound: 0
; FloatMode: 240
; IeeeMode: 1
; LDSByteSize: 0 bytes/workgroup (compile time only)
; SGPRBlocks: 2
; VGPRBlocks: 2
; NumSGPRsForWavesPerEU: 22
; NumVGPRsForWavesPerEU: 20
; AccumOffset: 20
; Occupancy: 8
; WaveLimiterHint : 0
; COMPUTE_PGM_RSRC2:SCRATCH_EN: 0
; COMPUTE_PGM_RSRC2:USER_SGPR: 2
; COMPUTE_PGM_RSRC2:TRAP_HANDLER: 0
; COMPUTE_PGM_RSRC2:TGID_X_EN: 1
; COMPUTE_PGM_RSRC2:TGID_Y_EN: 0
; COMPUTE_PGM_RSRC2:TGID_Z_EN: 0
; COMPUTE_PGM_RSRC2:TIDIG_COMP_CNT: 1
; COMPUTE_PGM_RSRC3_GFX90A:ACCUM_OFFSET: 4
; COMPUTE_PGM_RSRC3_GFX90A:TG_SPLIT: 0
	.section	.text._Z13topk_moe_cudaILi32ELb0EEvPKfPfPiS2_iiff15topk_moe_config,"axG",@progbits,_Z13topk_moe_cudaILi32ELb0EEvPKfPfPiS2_iiff15topk_moe_config,comdat
	.protected	_Z13topk_moe_cudaILi32ELb0EEvPKfPfPiS2_iiff15topk_moe_config ; -- Begin function _Z13topk_moe_cudaILi32ELb0EEvPKfPfPiS2_iiff15topk_moe_config
	.globl	_Z13topk_moe_cudaILi32ELb0EEvPKfPfPiS2_iiff15topk_moe_config
	.p2align	8
	.type	_Z13topk_moe_cudaILi32ELb0EEvPKfPfPiS2_iiff15topk_moe_config,@function
_Z13topk_moe_cudaILi32ELb0EEvPKfPfPiS2_iiff15topk_moe_config: ; @_Z13topk_moe_cudaILi32ELb0EEvPKfPfPiS2_iiff15topk_moe_config
; %bb.0:
	s_load_dword s3, s[0:1], 0x44
	s_load_dwordx4 s[4:7], s[0:1], 0x20
	v_bfe_u32 v1, v0, 10, 10
	s_waitcnt lgkmcnt(0)
	s_lshr_b32 s3, s3, 16
	s_mul_i32 s2, s2, s3
	v_add_u32_e32 v4, s2, v1
	v_cmp_gt_i32_e32 vcc, s4, v4
	s_and_saveexec_b64 s[2:3], vcc
	s_cbranch_execz .LBB16_39
; %bb.1:
	s_load_dwordx4 s[8:11], s[0:1], 0x0
	v_mov_b32_e32 v1, 0
	global_load_ushort v6, v1, s[0:1] offset:48
	v_lshlrev_b32_e32 v2, 5, v4
	v_ashrrev_i32_e32 v3, 31, v2
	s_waitcnt lgkmcnt(0)
	v_mov_b32_e32 v8, s8
	v_mov_b32_e32 v9, s9
	v_and_b32_e32 v5, 0x3ff, v0
	v_lshl_add_u64 v[8:9], v[2:3], 2, v[8:9]
	v_lshlrev_b32_e32 v0, 2, v5
	v_lshl_add_u64 v[8:9], v[8:9], 0, v[0:1]
	global_load_dword v8, v[8:9], off
	s_load_dwordx2 s[12:13], s[0:1], 0x10
	s_nop 0
	s_load_dword s0, s[0:1], 0x30
	s_waitcnt vmcnt(1)
	v_readfirstlane_b32 s1, v6
	s_and_b32 s4, 0xffff, s1
	s_waitcnt lgkmcnt(0)
	s_bitcmp1_b32 s0, 16
	s_cselect_b64 s[2:3], -1, 0
	s_and_b64 vcc, exec, s[2:3]
	s_cbranch_vccnz .LBB16_7
; %bb.2:
	v_and_b32_e32 v1, 1, v6
	v_cmp_eq_u32_e32 vcc, 0, v1
	s_cbranch_vccz .LBB16_4
; %bb.3:
	v_mbcnt_lo_u32_b32 v6, -1, 0
	v_mbcnt_hi_u32_b32 v6, -1, v6
	v_and_b32_e32 v7, 0x60, v6
	v_add_u32_e32 v7, 32, v7
	v_xor_b32_e32 v9, 16, v6
	v_cmp_lt_i32_e32 vcc, v9, v7
	s_waitcnt vmcnt(0)
	v_max_f32_e32 v1, v8, v8
	v_max_f32_e32 v1, 0xff800000, v1
	v_cndmask_b32_e32 v9, v6, v9, vcc
	v_lshlrev_b32_e32 v9, 2, v9
	ds_bpermute_b32 v10, v9, v1
	s_mov_b32 s0, 0x3fb8aa3b
	s_waitcnt lgkmcnt(0)
	v_max_f32_e32 v10, v10, v10
	v_max_f32_e32 v1, v1, v10
	v_xor_b32_e32 v10, 8, v6
	v_cmp_lt_i32_e32 vcc, v10, v7
	s_nop 1
	v_cndmask_b32_e32 v10, v6, v10, vcc
	v_lshlrev_b32_e32 v10, 2, v10
	ds_bpermute_b32 v11, v10, v1
	s_waitcnt lgkmcnt(0)
	v_max_f32_e32 v11, v11, v11
	v_max_f32_e32 v1, v1, v11
	v_xor_b32_e32 v11, 4, v6
	v_cmp_lt_i32_e32 vcc, v11, v7
	s_nop 1
	v_cndmask_b32_e32 v11, v6, v11, vcc
	v_lshlrev_b32_e32 v11, 2, v11
	ds_bpermute_b32 v12, v11, v1
	;; [unrolled: 9-line block ×4, first 2 shown]
	s_waitcnt lgkmcnt(0)
	v_max_f32_e32 v7, v7, v7
	v_max_f32_e32 v1, v1, v7
	v_sub_f32_e32 v1, v8, v1
	v_mul_f32_e32 v7, 0x3fb8aa3b, v1
	v_fma_f32 v13, v1, s0, -v7
	v_rndne_f32_e32 v14, v7
	v_fmamk_f32 v13, v1, 0x32a5705f, v13
	v_sub_f32_e32 v7, v7, v14
	v_add_f32_e32 v7, v7, v13
	v_exp_f32_e32 v7, v7
	v_cvt_i32_f32_e32 v13, v14
	s_mov_b32 s0, 0xc2ce8ed0
	v_cmp_ngt_f32_e32 vcc, s0, v1
	s_mov_b32 s0, 0x42b17218
	v_ldexp_f32 v7, v7, v13
	v_cndmask_b32_e32 v7, 0, v7, vcc
	v_mov_b32_e32 v13, 0x7f800000
	v_cmp_nlt_f32_e32 vcc, s0, v1
	s_nop 1
	v_cndmask_b32_e32 v1, v13, v7, vcc
	ds_bpermute_b32 v7, v9, v1
	s_waitcnt lgkmcnt(0)
	v_add_f32_e32 v7, v1, v7
	ds_bpermute_b32 v9, v10, v7
	s_waitcnt lgkmcnt(0)
	v_add_f32_e32 v7, v7, v9
	;; [unrolled: 3-line block ×5, first 2 shown]
	v_div_scale_f32 v7, s[0:1], v6, v6, 1.0
	v_rcp_f32_e32 v9, v7
	v_div_scale_f32 v10, vcc, 1.0, v6, 1.0
	v_fma_f32 v11, -v7, v9, 1.0
	v_fmac_f32_e32 v9, v11, v9
	v_mul_f32_e32 v11, v10, v9
	v_fma_f32 v12, -v7, v11, v10
	v_fmac_f32_e32 v11, v12, v9
	v_fma_f32 v7, -v7, v11, v10
	v_div_fmas_f32 v7, v7, v9, v11
	v_div_fixup_f32 v6, v7, v6, 1.0
	v_mul_f32_e32 v1, v1, v6
	s_cbranch_execz .LBB16_5
	s_branch .LBB16_6
.LBB16_4:
                                        ; implicit-def: $vgpr1
.LBB16_5:
	s_waitcnt vmcnt(0)
	v_mul_f32_e32 v1, 0xbfb8aa3b, v8
	s_mov_b32 s0, 0xbfb8aa3b
	v_rndne_f32_e32 v6, v1
	v_sub_f32_e32 v7, v1, v6
	v_fma_f32 v1, v8, s0, -v1
	v_fmamk_f32 v1, v8, 0xb2a5705f, v1
	v_add_f32_e32 v1, v7, v1
	v_exp_f32_e32 v1, v1
	v_cvt_i32_f32_e32 v6, v6
	s_mov_b32 s0, 0x42ce8ed0
	v_cmp_nlt_f32_e32 vcc, s0, v8
	s_mov_b32 s0, 0xc2b17218
	v_ldexp_f32 v1, v1, v6
	v_cndmask_b32_e32 v1, 0, v1, vcc
	v_mov_b32_e32 v6, 0x7f800000
	v_cmp_ngt_f32_e32 vcc, s0, v8
	s_nop 1
	v_cndmask_b32_e32 v1, v6, v1, vcc
	v_add_f32_e32 v1, 1.0, v1
	v_div_scale_f32 v6, s[0:1], v1, v1, 1.0
	v_rcp_f32_e32 v7, v6
	s_nop 0
	v_fma_f32 v8, -v6, v7, 1.0
	v_fmac_f32_e32 v7, v8, v7
	v_div_scale_f32 v8, vcc, 1.0, v1, 1.0
	v_mul_f32_e32 v9, v8, v7
	v_fma_f32 v10, -v6, v9, v8
	v_fmac_f32_e32 v9, v10, v7
	v_fma_f32 v6, -v6, v9, v8
	v_div_fmas_f32 v6, v6, v7, v9
	v_div_fixup_f32 v1, v6, v1, 1.0
.LBB16_6:
	s_waitcnt vmcnt(0)
	v_mov_b32_e32 v8, v1
.LBB16_7:
	s_lshr_b32 s14, s4, 8
	s_cmp_gt_i32 s5, 0
	s_cbranch_scc1 .LBB16_9
; %bb.8:
	s_bitcmp1_b32 s14, 0
	s_mov_b64 s[0:1], 0
	s_cselect_b64 s[8:9], -1, 0
	s_branch .LBB16_10
.LBB16_9:
	s_mov_b64 s[0:1], -1
                                        ; implicit-def: $sgpr8_sgpr9
.LBB16_10:
	v_mov_b32_e32 v7, 0
	s_andn2_b64 vcc, exec, s[0:1]
	v_mbcnt_lo_u32_b32 v6, -1, 0
	v_mov_b32_e32 v1, 0
	s_cbranch_vccnz .LBB16_35
; %bb.11:
	v_mov_b32_e32 v1, 0xff7fffff
	s_waitcnt vmcnt(0)
	v_cmp_o_f32_e32 vcc, v8, v8
	v_mov_b32_e32 v10, s12
	v_mov_b32_e32 v11, s13
	v_cndmask_b32_e32 v8, v1, v8, vcc
	v_mbcnt_hi_u32_b32 v1, -1, v6
	v_and_b32_e32 v7, 0x60, v1
	v_add_u32_e32 v7, 32, v7
	v_xor_b32_e32 v9, 16, v1
	v_lshl_add_u64 v[2:3], v[2:3], 2, v[10:11]
	v_cmp_lt_i32_e32 vcc, v9, v7
	v_xor_b32_e32 v10, 8, v1
	v_xor_b32_e32 v11, 4, v1
	v_cndmask_b32_e32 v9, v1, v9, vcc
	v_cmp_lt_i32_e32 vcc, v10, v7
	v_xor_b32_e32 v12, 2, v1
	v_xor_b32_e32 v13, 1, v1
	v_cndmask_b32_e32 v10, v1, v10, vcc
	v_cmp_lt_i32_e32 vcc, v11, v7
	s_bitcmp1_b32 s14, 0
	s_mov_b32 s4, 0
	v_cndmask_b32_e32 v11, v1, v11, vcc
	v_cmp_lt_i32_e32 vcc, v12, v7
	s_cselect_b64 s[8:9], -1, 0
	v_lshlrev_b32_e32 v9, 2, v9
	v_cndmask_b32_e32 v12, v1, v12, vcc
	v_cmp_lt_i32_e32 vcc, v13, v7
	v_lshlrev_b32_e32 v10, 2, v10
	v_lshlrev_b32_e32 v11, 2, v11
	v_cndmask_b32_e32 v1, v1, v13, vcc
	v_lshlrev_b32_e32 v12, 2, v12
	v_lshlrev_b32_e32 v13, 2, v1
	v_mov_b32_e32 v7, 0
	v_mov_b32_e32 v14, 0xff800000
	;; [unrolled: 1-line block ×3, first 2 shown]
	s_branch .LBB16_13
.LBB16_12:                              ;   in Loop: Header=BB16_13 Depth=1
	s_or_b64 exec, exec, s[0:1]
	s_and_b32 s0, s4, 31
	v_cndmask_b32_e32 v8, v8, v14, vcc
	v_cmp_eq_u32_e32 vcc, s0, v5
	s_add_i32 s4, s4, 1
	s_cmp_eq_u32 s5, s4
	v_cndmask_b32_e32 v1, v1, v15, vcc
	v_lshl_add_u64 v[2:3], v[2:3], 0, 4
	s_cbranch_scc1 .LBB16_35
.LBB16_13:                              ; =>This Inner Loop Header: Depth=1
	s_waitcnt lgkmcnt(0)
	ds_bpermute_b32 v18, v9, v8
	ds_bpermute_b32 v19, v9, v5
	s_waitcnt lgkmcnt(1)
	v_cmp_lt_f32_e64 s[12:13], v8, v18
	v_cmp_nlt_f32_e32 vcc, v8, v18
	s_and_saveexec_b64 s[14:15], vcc
	s_cbranch_execz .LBB16_15
; %bb.14:                               ;   in Loop: Header=BB16_13 Depth=1
	v_cmp_eq_f32_e32 vcc, v8, v18
	s_waitcnt lgkmcnt(0)
	v_cmp_lt_i32_e64 s[0:1], v19, v5
	s_and_b64 s[0:1], vcc, s[0:1]
	s_andn2_b64 s[12:13], s[12:13], exec
	s_and_b64 s[0:1], s[0:1], exec
	s_or_b64 s[12:13], s[12:13], s[0:1]
.LBB16_15:                              ;   in Loop: Header=BB16_13 Depth=1
	s_or_b64 exec, exec, s[14:15]
	v_mov_b32_e32 v17, v8
	v_mov_b32_e32 v15, v8
	;; [unrolled: 1-line block ×3, first 2 shown]
	s_and_saveexec_b64 s[0:1], s[12:13]
	s_cbranch_execz .LBB16_17
; %bb.16:                               ;   in Loop: Header=BB16_13 Depth=1
	v_mov_b32_e32 v17, v18
	v_mov_b32_e32 v15, v18
	s_waitcnt lgkmcnt(0)
	v_mov_b32_e32 v16, v19
.LBB16_17:                              ;   in Loop: Header=BB16_13 Depth=1
	s_or_b64 exec, exec, s[0:1]
	ds_bpermute_b32 v18, v10, v17
	s_waitcnt lgkmcnt(1)
	ds_bpermute_b32 v19, v10, v16
	s_waitcnt lgkmcnt(1)
	v_cmp_lt_f32_e64 s[12:13], v15, v18
	v_cmp_nlt_f32_e32 vcc, v15, v18
	s_and_saveexec_b64 s[14:15], vcc
	s_cbranch_execz .LBB16_19
; %bb.18:                               ;   in Loop: Header=BB16_13 Depth=1
	v_cmp_eq_f32_e32 vcc, v15, v18
	s_waitcnt lgkmcnt(0)
	v_cmp_lt_i32_e64 s[0:1], v19, v16
	s_and_b64 s[0:1], vcc, s[0:1]
	s_andn2_b64 s[12:13], s[12:13], exec
	s_and_b64 s[0:1], s[0:1], exec
	s_or_b64 s[12:13], s[12:13], s[0:1]
.LBB16_19:                              ;   in Loop: Header=BB16_13 Depth=1
	s_or_b64 exec, exec, s[14:15]
	s_and_saveexec_b64 s[0:1], s[12:13]
	s_cbranch_execz .LBB16_21
; %bb.20:                               ;   in Loop: Header=BB16_13 Depth=1
	v_mov_b32_e32 v17, v18
	v_mov_b32_e32 v15, v18
	s_waitcnt lgkmcnt(0)
	v_mov_b32_e32 v16, v19
.LBB16_21:                              ;   in Loop: Header=BB16_13 Depth=1
	s_or_b64 exec, exec, s[0:1]
	ds_bpermute_b32 v18, v11, v17
	s_waitcnt lgkmcnt(1)
	ds_bpermute_b32 v19, v11, v16
	s_waitcnt lgkmcnt(1)
	v_cmp_lt_f32_e64 s[12:13], v15, v18
	v_cmp_nlt_f32_e32 vcc, v15, v18
	s_and_saveexec_b64 s[14:15], vcc
	s_cbranch_execz .LBB16_23
; %bb.22:                               ;   in Loop: Header=BB16_13 Depth=1
	v_cmp_eq_f32_e32 vcc, v15, v18
	s_waitcnt lgkmcnt(0)
	v_cmp_lt_i32_e64 s[0:1], v19, v16
	s_and_b64 s[0:1], vcc, s[0:1]
	s_andn2_b64 s[12:13], s[12:13], exec
	s_and_b64 s[0:1], s[0:1], exec
	s_or_b64 s[12:13], s[12:13], s[0:1]
.LBB16_23:                              ;   in Loop: Header=BB16_13 Depth=1
	s_or_b64 exec, exec, s[14:15]
	s_and_saveexec_b64 s[0:1], s[12:13]
	s_cbranch_execz .LBB16_25
; %bb.24:                               ;   in Loop: Header=BB16_13 Depth=1
	v_mov_b32_e32 v17, v18
	v_mov_b32_e32 v15, v18
	s_waitcnt lgkmcnt(0)
	v_mov_b32_e32 v16, v19
.LBB16_25:                              ;   in Loop: Header=BB16_13 Depth=1
	s_or_b64 exec, exec, s[0:1]
	ds_bpermute_b32 v18, v12, v17
	s_waitcnt lgkmcnt(1)
	ds_bpermute_b32 v19, v12, v16
	s_waitcnt lgkmcnt(1)
	v_cmp_lt_f32_e64 s[12:13], v15, v18
	v_cmp_nlt_f32_e32 vcc, v15, v18
	s_and_saveexec_b64 s[14:15], vcc
	s_cbranch_execz .LBB16_27
; %bb.26:                               ;   in Loop: Header=BB16_13 Depth=1
	v_cmp_eq_f32_e32 vcc, v15, v18
	s_waitcnt lgkmcnt(0)
	v_cmp_lt_i32_e64 s[0:1], v19, v16
	s_and_b64 s[0:1], vcc, s[0:1]
	s_andn2_b64 s[12:13], s[12:13], exec
	s_and_b64 s[0:1], s[0:1], exec
	s_or_b64 s[12:13], s[12:13], s[0:1]
.LBB16_27:                              ;   in Loop: Header=BB16_13 Depth=1
	s_or_b64 exec, exec, s[14:15]
	s_and_saveexec_b64 s[0:1], s[12:13]
	s_cbranch_execz .LBB16_29
; %bb.28:                               ;   in Loop: Header=BB16_13 Depth=1
	v_mov_b32_e32 v17, v18
	v_mov_b32_e32 v15, v18
	s_waitcnt lgkmcnt(0)
	v_mov_b32_e32 v16, v19
.LBB16_29:                              ;   in Loop: Header=BB16_13 Depth=1
	s_or_b64 exec, exec, s[0:1]
	ds_bpermute_b32 v17, v13, v17
	ds_bpermute_b32 v18, v13, v16
	s_waitcnt lgkmcnt(1)
	v_cmp_lt_f32_e64 s[12:13], v15, v17
	v_cmp_nlt_f32_e32 vcc, v15, v17
	s_and_saveexec_b64 s[14:15], vcc
	s_cbranch_execz .LBB16_31
; %bb.30:                               ;   in Loop: Header=BB16_13 Depth=1
	v_cmp_eq_f32_e32 vcc, v15, v17
	s_waitcnt lgkmcnt(0)
	v_cmp_lt_i32_e64 s[0:1], v18, v16
	s_and_b64 s[0:1], vcc, s[0:1]
	s_andn2_b64 s[12:13], s[12:13], exec
	s_and_b64 s[0:1], s[0:1], exec
	s_or_b64 s[12:13], s[12:13], s[0:1]
.LBB16_31:                              ;   in Loop: Header=BB16_13 Depth=1
	s_or_b64 exec, exec, s[14:15]
	s_and_saveexec_b64 s[0:1], s[12:13]
	s_cbranch_execz .LBB16_33
; %bb.32:                               ;   in Loop: Header=BB16_13 Depth=1
	v_mov_b32_e32 v15, v17
	s_waitcnt lgkmcnt(0)
	v_mov_b32_e32 v16, v18
.LBB16_33:                              ;   in Loop: Header=BB16_13 Depth=1
	s_or_b64 exec, exec, s[0:1]
	v_and_b32_e32 v17, 31, v16
	v_cmp_eq_u32_e32 vcc, v17, v5
	s_and_saveexec_b64 s[0:1], vcc
	s_cbranch_execz .LBB16_12
; %bb.34:                               ;   in Loop: Header=BB16_13 Depth=1
	v_add_f32_e32 v17, v7, v15
	v_cndmask_b32_e64 v7, v7, v17, s[8:9]
	global_store_dword v[2:3], v16, off
	s_branch .LBB16_12
.LBB16_35:
	s_and_b64 vcc, exec, s[8:9]
	s_cbranch_vccnz .LBB16_40
; %bb.36:
	s_andn2_b64 vcc, exec, s[2:3]
	v_cmp_gt_i32_e64 s[0:1], s5, v5
	s_cbranch_vccz .LBB16_41
.LBB16_37:
	v_cmp_gt_i32_e32 vcc, s5, v5
	s_and_b64 exec, exec, vcc
	s_cbranch_execz .LBB16_39
.LBB16_38:
	v_mul_lo_u32 v4, v4, s5
	v_mov_b32_e32 v2, s10
	v_mov_b32_e32 v3, s11
	v_ashrrev_i32_e32 v5, 31, v4
	v_lshl_add_u64 v[2:3], v[4:5], 2, v[2:3]
	v_mul_f32_e32 v4, s7, v1
	v_mov_b32_e32 v1, 0
	v_lshl_add_u64 v[0:1], v[2:3], 0, v[0:1]
	global_store_dword v[0:1], v4, off
.LBB16_39:
	s_endpgm
.LBB16_40:
	v_mbcnt_hi_u32_b32 v2, -1, v6
	v_and_b32_e32 v3, 0x60, v2
	v_add_u32_e32 v3, 32, v3
	s_waitcnt vmcnt(0)
	v_xor_b32_e32 v8, 16, v2
	v_cmp_lt_i32_e32 vcc, v8, v3
	v_xor_b32_e32 v9, 8, v2
	s_nop 0
	v_cndmask_b32_e32 v8, v2, v8, vcc
	v_lshlrev_b32_e32 v8, 2, v8
	ds_bpermute_b32 v8, v8, v7
	v_cmp_lt_i32_e32 vcc, v9, v3
	s_waitcnt lgkmcnt(0)
	v_add_f32_e32 v7, v7, v8
	v_cndmask_b32_e32 v8, v2, v9, vcc
	v_lshlrev_b32_e32 v8, 2, v8
	ds_bpermute_b32 v8, v8, v7
	v_xor_b32_e32 v9, 4, v2
	v_cmp_lt_i32_e32 vcc, v9, v3
	s_waitcnt lgkmcnt(0)
	v_add_f32_e32 v7, v7, v8
	v_cndmask_b32_e32 v8, v2, v9, vcc
	v_lshlrev_b32_e32 v8, 2, v8
	ds_bpermute_b32 v8, v8, v7
	v_xor_b32_e32 v9, 2, v2
	v_cmp_lt_i32_e32 vcc, v9, v3
	s_waitcnt lgkmcnt(0)
	v_add_f32_e32 v7, v7, v8
	v_cndmask_b32_e32 v8, v2, v9, vcc
	v_lshlrev_b32_e32 v8, 2, v8
	ds_bpermute_b32 v8, v8, v7
	v_xor_b32_e32 v9, 1, v2
	v_cmp_lt_i32_e32 vcc, v9, v3
	v_max_f32_e64 v3, s6, s6
	s_waitcnt lgkmcnt(0)
	v_add_f32_e32 v7, v7, v8
	v_cndmask_b32_e32 v2, v2, v9, vcc
	v_lshlrev_b32_e32 v2, 2, v2
	ds_bpermute_b32 v2, v2, v7
	s_waitcnt lgkmcnt(0)
	v_add_f32_e32 v2, v7, v2
	v_max_f32_e32 v2, v2, v3
	v_div_scale_f32 v3, s[0:1], v2, v2, 1.0
	v_rcp_f32_e32 v7, v3
	v_div_scale_f32 v8, vcc, 1.0, v2, 1.0
	v_fma_f32 v9, -v3, v7, 1.0
	v_fmac_f32_e32 v7, v9, v7
	v_mul_f32_e32 v9, v8, v7
	v_fma_f32 v10, -v3, v9, v8
	v_fmac_f32_e32 v9, v10, v7
	v_fma_f32 v3, -v3, v9, v8
	v_div_fmas_f32 v3, v3, v7, v9
	v_div_fixup_f32 v2, v3, v2, 1.0
	v_mul_f32_e32 v1, v2, v1
	s_andn2_b64 vcc, exec, s[2:3]
	v_cmp_gt_i32_e64 s[0:1], s5, v5
	s_cbranch_vccnz .LBB16_37
.LBB16_41:
	v_max_f32_e32 v2, v1, v1
	v_max_f32_e32 v2, 0xff800000, v2
	v_mov_b32_e32 v3, 0xff800000
	v_cndmask_b32_e64 v2, v3, v2, s[0:1]
	v_mbcnt_hi_u32_b32 v3, -1, v6
	v_and_b32_e32 v6, 0x60, v3
	v_add_u32_e32 v6, 32, v6
	v_xor_b32_e32 v7, 16, v3
	v_cmp_lt_i32_e32 vcc, v7, v6
	s_mov_b32 s2, 0x3fb8aa3b
	s_nop 0
	v_cndmask_b32_e32 v7, v3, v7, vcc
	v_lshlrev_b32_e32 v7, 2, v7
	s_waitcnt vmcnt(0)
	ds_bpermute_b32 v8, v7, v2
	s_waitcnt lgkmcnt(0)
	v_max_f32_e32 v8, v8, v8
	v_max_f32_e32 v2, v2, v8
	v_xor_b32_e32 v8, 8, v3
	v_cmp_lt_i32_e32 vcc, v8, v6
	s_nop 1
	v_cndmask_b32_e32 v8, v3, v8, vcc
	v_lshlrev_b32_e32 v8, 2, v8
	ds_bpermute_b32 v9, v8, v2
	s_waitcnt lgkmcnt(0)
	v_max_f32_e32 v9, v9, v9
	v_max_f32_e32 v2, v2, v9
	v_xor_b32_e32 v9, 4, v3
	v_cmp_lt_i32_e32 vcc, v9, v6
	s_nop 1
	v_cndmask_b32_e32 v9, v3, v9, vcc
	v_lshlrev_b32_e32 v9, 2, v9
	;; [unrolled: 9-line block ×4, first 2 shown]
	ds_bpermute_b32 v3, v6, v2
	s_waitcnt lgkmcnt(0)
	v_max_f32_e32 v3, v3, v3
	v_max_f32_e32 v2, v2, v3
	v_sub_f32_e32 v1, v1, v2
	v_mul_f32_e32 v2, 0x3fb8aa3b, v1
	v_fma_f32 v3, v1, s2, -v2
	v_rndne_f32_e32 v11, v2
	v_fmamk_f32 v3, v1, 0x32a5705f, v3
	v_sub_f32_e32 v2, v2, v11
	v_add_f32_e32 v2, v2, v3
	v_exp_f32_e32 v2, v2
	v_cvt_i32_f32_e32 v3, v11
	s_mov_b32 s2, 0xc2ce8ed0
	v_cmp_ngt_f32_e32 vcc, s2, v1
	s_mov_b32 s2, 0x42b17218
	v_ldexp_f32 v2, v2, v3
	v_cndmask_b32_e32 v2, 0, v2, vcc
	v_mov_b32_e32 v3, 0x7f800000
	v_cmp_nlt_f32_e32 vcc, s2, v1
	s_nop 1
	v_cndmask_b32_e32 v2, v3, v2, vcc
	v_cndmask_b32_e64 v1, 0, v2, s[0:1]
	ds_bpermute_b32 v3, v7, v1
	s_waitcnt lgkmcnt(0)
	v_add_f32_e32 v1, v1, v3
	ds_bpermute_b32 v3, v8, v1
	s_waitcnt lgkmcnt(0)
	v_add_f32_e32 v1, v1, v3
	;; [unrolled: 3-line block ×4, first 2 shown]
	ds_bpermute_b32 v6, v6, v3
	v_mov_b32_e32 v1, 0
	s_and_saveexec_b64 s[2:3], s[0:1]
	s_cbranch_execz .LBB16_43
; %bb.42:
	s_waitcnt lgkmcnt(0)
	v_add_f32_e32 v1, v3, v6
	v_div_scale_f32 v3, s[0:1], v1, v1, 1.0
	v_rcp_f32_e32 v6, v3
	v_div_scale_f32 v7, vcc, 1.0, v1, 1.0
	v_fma_f32 v8, -v3, v6, 1.0
	v_fmac_f32_e32 v6, v8, v6
	v_mul_f32_e32 v8, v7, v6
	v_fma_f32 v9, -v3, v8, v7
	v_fmac_f32_e32 v8, v9, v6
	v_fma_f32 v3, -v3, v8, v7
	v_div_fmas_f32 v3, v3, v6, v8
	v_div_fixup_f32 v1, v3, v1, 1.0
	v_mul_f32_e32 v1, v2, v1
.LBB16_43:
	s_or_b64 exec, exec, s[2:3]
	v_cmp_gt_i32_e32 vcc, s5, v5
	s_and_b64 exec, exec, vcc
	s_cbranch_execnz .LBB16_38
	s_branch .LBB16_39
	.section	.rodata,"a",@progbits
	.p2align	6, 0x0
	.amdhsa_kernel _Z13topk_moe_cudaILi32ELb0EEvPKfPfPiS2_iiff15topk_moe_config
		.amdhsa_group_segment_fixed_size 0
		.amdhsa_private_segment_fixed_size 0
		.amdhsa_kernarg_size 312
		.amdhsa_user_sgpr_count 2
		.amdhsa_user_sgpr_dispatch_ptr 0
		.amdhsa_user_sgpr_queue_ptr 0
		.amdhsa_user_sgpr_kernarg_segment_ptr 1
		.amdhsa_user_sgpr_dispatch_id 0
		.amdhsa_user_sgpr_kernarg_preload_length 0
		.amdhsa_user_sgpr_kernarg_preload_offset 0
		.amdhsa_user_sgpr_private_segment_size 0
		.amdhsa_uses_dynamic_stack 0
		.amdhsa_enable_private_segment 0
		.amdhsa_system_sgpr_workgroup_id_x 1
		.amdhsa_system_sgpr_workgroup_id_y 0
		.amdhsa_system_sgpr_workgroup_id_z 0
		.amdhsa_system_sgpr_workgroup_info 0
		.amdhsa_system_vgpr_workitem_id 1
		.amdhsa_next_free_vgpr 20
		.amdhsa_next_free_sgpr 16
		.amdhsa_accum_offset 20
		.amdhsa_reserve_vcc 1
		.amdhsa_float_round_mode_32 0
		.amdhsa_float_round_mode_16_64 0
		.amdhsa_float_denorm_mode_32 3
		.amdhsa_float_denorm_mode_16_64 3
		.amdhsa_dx10_clamp 1
		.amdhsa_ieee_mode 1
		.amdhsa_fp16_overflow 0
		.amdhsa_tg_split 0
		.amdhsa_exception_fp_ieee_invalid_op 0
		.amdhsa_exception_fp_denorm_src 0
		.amdhsa_exception_fp_ieee_div_zero 0
		.amdhsa_exception_fp_ieee_overflow 0
		.amdhsa_exception_fp_ieee_underflow 0
		.amdhsa_exception_fp_ieee_inexact 0
		.amdhsa_exception_int_div_zero 0
	.end_amdhsa_kernel
	.section	.text._Z13topk_moe_cudaILi32ELb0EEvPKfPfPiS2_iiff15topk_moe_config,"axG",@progbits,_Z13topk_moe_cudaILi32ELb0EEvPKfPfPiS2_iiff15topk_moe_config,comdat
.Lfunc_end16:
	.size	_Z13topk_moe_cudaILi32ELb0EEvPKfPfPiS2_iiff15topk_moe_config, .Lfunc_end16-_Z13topk_moe_cudaILi32ELb0EEvPKfPfPiS2_iiff15topk_moe_config
                                        ; -- End function
	.set _Z13topk_moe_cudaILi32ELb0EEvPKfPfPiS2_iiff15topk_moe_config.num_vgpr, 20
	.set _Z13topk_moe_cudaILi32ELb0EEvPKfPfPiS2_iiff15topk_moe_config.num_agpr, 0
	.set _Z13topk_moe_cudaILi32ELb0EEvPKfPfPiS2_iiff15topk_moe_config.numbered_sgpr, 16
	.set _Z13topk_moe_cudaILi32ELb0EEvPKfPfPiS2_iiff15topk_moe_config.num_named_barrier, 0
	.set _Z13topk_moe_cudaILi32ELb0EEvPKfPfPiS2_iiff15topk_moe_config.private_seg_size, 0
	.set _Z13topk_moe_cudaILi32ELb0EEvPKfPfPiS2_iiff15topk_moe_config.uses_vcc, 1
	.set _Z13topk_moe_cudaILi32ELb0EEvPKfPfPiS2_iiff15topk_moe_config.uses_flat_scratch, 0
	.set _Z13topk_moe_cudaILi32ELb0EEvPKfPfPiS2_iiff15topk_moe_config.has_dyn_sized_stack, 0
	.set _Z13topk_moe_cudaILi32ELb0EEvPKfPfPiS2_iiff15topk_moe_config.has_recursion, 0
	.set _Z13topk_moe_cudaILi32ELb0EEvPKfPfPiS2_iiff15topk_moe_config.has_indirect_call, 0
	.section	.AMDGPU.csdata,"",@progbits
; Kernel info:
; codeLenInByte = 2692
; TotalNumSgprs: 22
; NumVgprs: 20
; NumAgprs: 0
; TotalNumVgprs: 20
; ScratchSize: 0
; MemoryBound: 0
; FloatMode: 240
; IeeeMode: 1
; LDSByteSize: 0 bytes/workgroup (compile time only)
; SGPRBlocks: 2
; VGPRBlocks: 2
; NumSGPRsForWavesPerEU: 22
; NumVGPRsForWavesPerEU: 20
; AccumOffset: 20
; Occupancy: 8
; WaveLimiterHint : 0
; COMPUTE_PGM_RSRC2:SCRATCH_EN: 0
; COMPUTE_PGM_RSRC2:USER_SGPR: 2
; COMPUTE_PGM_RSRC2:TRAP_HANDLER: 0
; COMPUTE_PGM_RSRC2:TGID_X_EN: 1
; COMPUTE_PGM_RSRC2:TGID_Y_EN: 0
; COMPUTE_PGM_RSRC2:TGID_Z_EN: 0
; COMPUTE_PGM_RSRC2:TIDIG_COMP_CNT: 1
; COMPUTE_PGM_RSRC3_GFX90A:ACCUM_OFFSET: 4
; COMPUTE_PGM_RSRC3_GFX90A:TG_SPLIT: 0
	.section	.text._Z13topk_moe_cudaILi64ELb0EEvPKfPfPiS2_iiff15topk_moe_config,"axG",@progbits,_Z13topk_moe_cudaILi64ELb0EEvPKfPfPiS2_iiff15topk_moe_config,comdat
	.protected	_Z13topk_moe_cudaILi64ELb0EEvPKfPfPiS2_iiff15topk_moe_config ; -- Begin function _Z13topk_moe_cudaILi64ELb0EEvPKfPfPiS2_iiff15topk_moe_config
	.globl	_Z13topk_moe_cudaILi64ELb0EEvPKfPfPiS2_iiff15topk_moe_config
	.p2align	8
	.type	_Z13topk_moe_cudaILi64ELb0EEvPKfPfPiS2_iiff15topk_moe_config,@function
_Z13topk_moe_cudaILi64ELb0EEvPKfPfPiS2_iiff15topk_moe_config: ; @_Z13topk_moe_cudaILi64ELb0EEvPKfPfPiS2_iiff15topk_moe_config
; %bb.0:
	s_load_dword s3, s[0:1], 0x44
	s_load_dwordx4 s[4:7], s[0:1], 0x20
	v_bfe_u32 v1, v0, 10, 10
	s_waitcnt lgkmcnt(0)
	s_lshr_b32 s3, s3, 16
	s_mul_i32 s2, s2, s3
	v_add_u32_e32 v3, s2, v1
	v_cmp_gt_i32_e32 vcc, s4, v3
	s_and_saveexec_b64 s[2:3], vcc
	s_cbranch_execz .LBB17_46
; %bb.1:
	s_load_dwordx4 s[8:11], s[0:1], 0x0
	v_mov_b32_e32 v1, 0
	global_load_ushort v6, v1, s[0:1] offset:48
	v_lshlrev_b32_e32 v4, 6, v3
	v_ashrrev_i32_e32 v5, 31, v4
	s_waitcnt lgkmcnt(0)
	v_mov_b32_e32 v8, s8
	v_mov_b32_e32 v9, s9
	v_and_b32_e32 v2, 0x3ff, v0
	v_lshl_add_u64 v[8:9], v[4:5], 2, v[8:9]
	v_lshlrev_b32_e32 v0, 2, v2
	v_lshl_add_u64 v[10:11], v[8:9], 0, v[0:1]
	global_load_dword v8, v[10:11], off
	global_load_dword v1, v[10:11], off offset:128
	s_load_dwordx2 s[12:13], s[0:1], 0x10
	s_nop 0
	s_load_dword s0, s[0:1], 0x30
	s_waitcnt vmcnt(2)
	v_readfirstlane_b32 s1, v6
	s_and_b32 s4, 0xffff, s1
	s_waitcnt lgkmcnt(0)
	s_bitcmp1_b32 s0, 16
	s_cselect_b64 s[2:3], -1, 0
	s_and_b64 vcc, exec, s[2:3]
	s_cbranch_vccnz .LBB17_7
; %bb.2:
	v_and_b32_e32 v6, 1, v6
	v_cmp_eq_u32_e32 vcc, 0, v6
	s_cbranch_vccz .LBB17_4
; %bb.3:
	v_mbcnt_lo_u32_b32 v7, -1, 0
	v_mbcnt_hi_u32_b32 v7, -1, v7
	v_and_b32_e32 v9, 0x60, v7
	v_add_u32_e32 v9, 32, v9
	v_xor_b32_e32 v10, 16, v7
	v_cmp_lt_i32_e32 vcc, v10, v9
	s_mov_b32 s0, 0xff800000
	s_waitcnt vmcnt(0)
	v_max3_f32 v6, v8, s0, v1
	v_cndmask_b32_e32 v10, v7, v10, vcc
	v_lshlrev_b32_e32 v10, 2, v10
	ds_bpermute_b32 v11, v10, v6
	s_mov_b32 s0, 0x3fb8aa3b
	s_mov_b32 s1, 0xc2ce8ed0
	;; [unrolled: 1-line block ×3, first 2 shown]
	v_mov_b32_e32 v18, 0x7f800000
	s_waitcnt lgkmcnt(0)
	v_max_f32_e32 v11, v11, v11
	v_max_f32_e32 v6, v6, v11
	v_xor_b32_e32 v11, 8, v7
	v_cmp_lt_i32_e32 vcc, v11, v9
	s_nop 1
	v_cndmask_b32_e32 v11, v7, v11, vcc
	v_lshlrev_b32_e32 v11, 2, v11
	ds_bpermute_b32 v12, v11, v6
	s_waitcnt lgkmcnt(0)
	v_max_f32_e32 v12, v12, v12
	v_max_f32_e32 v6, v6, v12
	v_xor_b32_e32 v12, 4, v7
	v_cmp_lt_i32_e32 vcc, v12, v9
	s_nop 1
	v_cndmask_b32_e32 v12, v7, v12, vcc
	v_lshlrev_b32_e32 v12, 2, v12
	ds_bpermute_b32 v13, v12, v6
	;; [unrolled: 9-line block ×4, first 2 shown]
	s_waitcnt lgkmcnt(0)
	v_max_f32_e32 v7, v7, v7
	v_max_f32_e32 v6, v6, v7
	v_sub_f32_e32 v7, v8, v6
	v_mul_f32_e32 v14, 0x3fb8aa3b, v7
	v_fma_f32 v15, v7, s0, -v14
	v_rndne_f32_e32 v16, v14
	v_fmac_f32_e32 v15, 0x32a5705f, v7
	v_sub_f32_e32 v14, v14, v16
	v_add_f32_e32 v14, v14, v15
	v_exp_f32_e32 v14, v14
	v_cvt_i32_f32_e32 v15, v16
	v_cmp_ngt_f32_e32 vcc, s1, v7
	v_ldexp_f32 v14, v14, v15
	v_sub_f32_e32 v15, v1, v6
	v_mul_f32_e32 v6, 0x3fb8aa3b, v15
	v_fma_f32 v16, v15, s0, -v6
	v_rndne_f32_e32 v17, v6
	v_fmac_f32_e32 v16, 0x32a5705f, v15
	v_sub_f32_e32 v6, v6, v17
	v_add_f32_e32 v6, v6, v16
	v_exp_f32_e32 v16, v6
	v_cvt_i32_f32_e32 v17, v17
	v_cndmask_b32_e32 v14, 0, v14, vcc
	v_cmp_nlt_f32_e32 vcc, s8, v7
	v_ldexp_f32 v7, v16, v17
	s_nop 0
	v_cndmask_b32_e32 v6, v18, v14, vcc
	v_cmp_ngt_f32_e32 vcc, s1, v15
	s_nop 1
	v_cndmask_b32_e32 v7, 0, v7, vcc
	v_cmp_nlt_f32_e32 vcc, s8, v15
	s_nop 1
	v_cndmask_b32_e32 v7, v18, v7, vcc
	v_add_f32_e32 v14, v6, v7
	ds_bpermute_b32 v10, v10, v14
	s_waitcnt lgkmcnt(0)
	v_add_f32_e32 v10, v14, v10
	ds_bpermute_b32 v11, v11, v10
	s_waitcnt lgkmcnt(0)
	;; [unrolled: 3-line block ×5, first 2 shown]
	v_add_f32_e32 v9, v10, v9
	v_div_scale_f32 v10, s[0:1], v9, v9, 1.0
	v_rcp_f32_e32 v11, v10
	v_div_scale_f32 v12, vcc, 1.0, v9, 1.0
	v_fma_f32 v13, -v10, v11, 1.0
	v_fmac_f32_e32 v11, v13, v11
	v_mul_f32_e32 v13, v12, v11
	v_fma_f32 v14, -v10, v13, v12
	v_fmac_f32_e32 v13, v14, v11
	v_fma_f32 v10, -v10, v13, v12
	v_div_fmas_f32 v10, v10, v11, v13
	v_div_fixup_f32 v10, v10, v9, 1.0
	v_pk_mul_f32 v[6:7], v[6:7], v[10:11] op_sel_hi:[1,0]
	s_cbranch_execz .LBB17_5
	s_branch .LBB17_6
.LBB17_4:
                                        ; implicit-def: $vgpr7
.LBB17_5:
	s_waitcnt vmcnt(1)
	v_mul_f32_e32 v6, 0xbfb8aa3b, v8
	s_mov_b32 s0, 0xbfb8aa3b
	v_rndne_f32_e32 v7, v6
	v_sub_f32_e32 v9, v6, v7
	v_fma_f32 v6, v8, s0, -v6
	v_fmac_f32_e32 v6, 0xb2a5705f, v8
	v_add_f32_e32 v6, v9, v6
	v_exp_f32_e32 v6, v6
	v_cvt_i32_f32_e32 v7, v7
	s_mov_b32 s1, 0x42ce8ed0
	v_cmp_nlt_f32_e32 vcc, s1, v8
	s_mov_b32 s8, 0xc2b17218
	v_ldexp_f32 v6, v6, v7
	s_waitcnt vmcnt(0)
	v_mul_f32_e32 v7, 0xbfb8aa3b, v1
	v_rndne_f32_e32 v9, v7
	v_sub_f32_e32 v10, v7, v9
	v_fma_f32 v7, v1, s0, -v7
	v_fmac_f32_e32 v7, 0xb2a5705f, v1
	v_add_f32_e32 v7, v10, v7
	v_exp_f32_e32 v7, v7
	v_cvt_i32_f32_e32 v9, v9
	v_cndmask_b32_e32 v6, 0, v6, vcc
	v_mov_b32_e32 v10, 0x7f800000
	v_cmp_ngt_f32_e32 vcc, s8, v8
	v_ldexp_f32 v7, v7, v9
	s_nop 0
	v_cndmask_b32_e32 v6, v10, v6, vcc
	v_cmp_nlt_f32_e32 vcc, s1, v1
	s_nop 1
	v_cndmask_b32_e32 v7, 0, v7, vcc
	v_cmp_ngt_f32_e32 vcc, s8, v1
	s_nop 1
	v_cndmask_b32_e32 v7, v10, v7, vcc
	v_pk_add_f32 v[6:7], v[6:7], 1.0 op_sel_hi:[1,0]
	s_nop 0
	v_div_scale_f32 v1, s[0:1], v6, v6, 1.0
	v_rcp_f32_e32 v8, v1
	s_nop 0
	v_fma_f32 v9, -v1, v8, 1.0
	v_fmac_f32_e32 v8, v9, v8
	v_div_scale_f32 v9, vcc, 1.0, v6, 1.0
	v_mul_f32_e32 v10, v9, v8
	v_fma_f32 v11, -v1, v10, v9
	v_fmac_f32_e32 v10, v11, v8
	v_fma_f32 v1, -v1, v10, v9
	v_div_scale_f32 v9, s[0:1], v7, v7, 1.0
	v_rcp_f32_e32 v11, v9
	v_div_fmas_f32 v1, v1, v8, v10
	v_div_fixup_f32 v6, v1, v6, 1.0
	v_fma_f32 v1, -v9, v11, 1.0
	v_fmac_f32_e32 v11, v1, v11
	v_div_scale_f32 v1, vcc, 1.0, v7, 1.0
	v_mul_f32_e32 v8, v1, v11
	v_fma_f32 v10, -v9, v8, v1
	v_fmac_f32_e32 v8, v10, v11
	v_fma_f32 v1, -v9, v8, v1
	v_div_fmas_f32 v1, v1, v11, v8
	v_div_fixup_f32 v7, v1, v7, 1.0
.LBB17_6:
	s_waitcnt vmcnt(1)
	v_mov_b32_e32 v8, v6
	s_waitcnt vmcnt(0)
	v_mov_b32_e32 v1, v7
.LBB17_7:
	s_lshr_b32 s14, s4, 8
	s_cmp_gt_i32 s5, 0
	s_cbranch_scc1 .LBB17_9
; %bb.8:
	s_bitcmp1_b32 s14, 0
	s_mov_b64 s[0:1], 0
	s_cselect_b64 s[8:9], -1, 0
	s_branch .LBB17_10
.LBB17_9:
	s_mov_b64 s[0:1], -1
                                        ; implicit-def: $sgpr8_sgpr9
.LBB17_10:
	v_add_u32_e32 v11, 32, v2
	s_mov_b32 s4, 0
	s_andn2_b64 vcc, exec, s[0:1]
	v_mbcnt_lo_u32_b32 v12, -1, 0
	s_cbranch_vccnz .LBB17_37
; %bb.11:
	v_mov_b32_e32 v6, s12
	v_mov_b32_e32 v7, s13
	v_lshl_add_u64 v[6:7], v[4:5], 2, v[6:7]
	v_mov_b32_e32 v4, 0xff7fffff
	s_waitcnt vmcnt(1)
	v_cmp_o_f32_e32 vcc, v8, v8
	s_bitcmp1_b32 s14, 0
	s_cselect_b64 s[8:9], -1, 0
	v_cndmask_b32_e32 v10, v4, v8, vcc
	s_waitcnt vmcnt(0)
	v_cmp_o_f32_e32 vcc, v1, v1
	v_mov_b32_e32 v17, 0xff800000
	s_nop 0
	v_cndmask_b32_e32 v1, v4, v1, vcc
	v_mbcnt_hi_u32_b32 v4, -1, v12
	v_and_b32_e32 v5, 0x60, v4
	v_add_u32_e32 v5, 32, v5
	v_xor_b32_e32 v8, 16, v4
	v_cmp_lt_i32_e32 vcc, v8, v5
	s_nop 1
	v_cndmask_b32_e32 v8, v4, v8, vcc
	v_lshlrev_b32_e32 v9, 2, v8
	v_xor_b32_e32 v8, 8, v4
	v_cmp_lt_i32_e32 vcc, v8, v5
	s_nop 1
	v_cndmask_b32_e32 v8, v4, v8, vcc
	v_lshlrev_b32_e32 v13, 2, v8
	;; [unrolled: 5-line block ×4, first 2 shown]
	v_xor_b32_e32 v8, 1, v4
	v_cmp_lt_i32_e32 vcc, v8, v5
	v_mov_b32_e32 v5, 0
	s_nop 0
	v_cndmask_b32_e32 v4, v4, v8, vcc
	v_lshlrev_b32_e32 v16, 2, v4
	v_mov_b32_e32 v8, 0
	v_mov_b32_e32 v4, 0
	s_branch .LBB17_13
.LBB17_12:                              ;   in Loop: Header=BB17_13 Depth=1
	s_or_b64 exec, exec, s[0:1]
	s_and_b32 s0, s4, 31
	s_lshr_b32 s1, s4, 5
	s_cmp_eq_u32 s1, 0
	s_cselect_b64 vcc, -1, 0
	s_cmp_eq_u32 s1, 1
	v_cndmask_b32_e32 v19, v4, v18, vcc
	s_cselect_b64 vcc, -1, 0
	v_cndmask_b32_e32 v18, v5, v18, vcc
	v_cmp_eq_u32_e32 vcc, s0, v2
	s_add_i32 s4, s4, 1
	s_cmp_eq_u32 s5, s4
	v_cndmask_b32_e32 v5, v5, v18, vcc
	v_cndmask_b32_e32 v4, v4, v19, vcc
	v_lshl_add_u64 v[6:7], v[6:7], 0, 4
	s_cbranch_scc1 .LBB17_38
.LBB17_13:                              ; =>This Inner Loop Header: Depth=1
	v_cmp_gt_f32_e32 vcc, v1, v10
	s_nop 1
	v_cndmask_b32_e32 v18, v10, v1, vcc
	ds_bpermute_b32 v20, v9, v18
	v_cndmask_b32_e32 v19, v2, v11, vcc
	s_waitcnt lgkmcnt(1)
	ds_bpermute_b32 v21, v9, v19
	s_waitcnt lgkmcnt(1)
	v_cmp_lt_f32_e64 s[12:13], v18, v20
	v_cmp_nlt_f32_e32 vcc, v18, v20
	s_and_saveexec_b64 s[14:15], vcc
	s_cbranch_execz .LBB17_15
; %bb.14:                               ;   in Loop: Header=BB17_13 Depth=1
	v_cmp_eq_f32_e32 vcc, v18, v20
	s_waitcnt lgkmcnt(0)
	v_cmp_lt_i32_e64 s[0:1], v21, v19
	s_and_b64 s[0:1], vcc, s[0:1]
	s_andn2_b64 s[12:13], s[12:13], exec
	s_and_b64 s[0:1], s[0:1], exec
	s_or_b64 s[12:13], s[12:13], s[0:1]
.LBB17_15:                              ;   in Loop: Header=BB17_13 Depth=1
	s_or_b64 exec, exec, s[14:15]
	s_and_saveexec_b64 s[0:1], s[12:13]
	s_cbranch_execz .LBB17_17
; %bb.16:                               ;   in Loop: Header=BB17_13 Depth=1
	v_mov_b32_e32 v18, v20
	s_waitcnt lgkmcnt(0)
	v_mov_b32_e32 v19, v21
.LBB17_17:                              ;   in Loop: Header=BB17_13 Depth=1
	s_or_b64 exec, exec, s[0:1]
	s_waitcnt lgkmcnt(0)
	ds_bpermute_b32 v21, v13, v18
	ds_bpermute_b32 v20, v13, v19
	s_waitcnt lgkmcnt(1)
	v_cmp_lt_f32_e64 s[12:13], v18, v21
	v_cmp_nlt_f32_e32 vcc, v18, v21
	s_and_saveexec_b64 s[14:15], vcc
	s_cbranch_execz .LBB17_19
; %bb.18:                               ;   in Loop: Header=BB17_13 Depth=1
	v_cmp_eq_f32_e32 vcc, v18, v21
	s_waitcnt lgkmcnt(0)
	v_cmp_lt_i32_e64 s[0:1], v20, v19
	s_and_b64 s[0:1], vcc, s[0:1]
	s_andn2_b64 s[12:13], s[12:13], exec
	s_and_b64 s[0:1], s[0:1], exec
	s_or_b64 s[12:13], s[12:13], s[0:1]
.LBB17_19:                              ;   in Loop: Header=BB17_13 Depth=1
	s_or_b64 exec, exec, s[14:15]
	s_and_saveexec_b64 s[0:1], s[12:13]
	s_cbranch_execz .LBB17_21
; %bb.20:                               ;   in Loop: Header=BB17_13 Depth=1
	v_mov_b32_e32 v18, v21
	s_waitcnt lgkmcnt(0)
	v_mov_b32_e32 v19, v20
.LBB17_21:                              ;   in Loop: Header=BB17_13 Depth=1
	s_or_b64 exec, exec, s[0:1]
	ds_bpermute_b32 v21, v14, v18
	s_waitcnt lgkmcnt(1)
	ds_bpermute_b32 v20, v14, v19
	s_waitcnt lgkmcnt(1)
	v_cmp_lt_f32_e64 s[12:13], v18, v21
	v_cmp_nlt_f32_e32 vcc, v18, v21
	s_and_saveexec_b64 s[14:15], vcc
	s_cbranch_execz .LBB17_23
; %bb.22:                               ;   in Loop: Header=BB17_13 Depth=1
	v_cmp_eq_f32_e32 vcc, v18, v21
	s_waitcnt lgkmcnt(0)
	v_cmp_lt_i32_e64 s[0:1], v20, v19
	s_and_b64 s[0:1], vcc, s[0:1]
	s_andn2_b64 s[12:13], s[12:13], exec
	s_and_b64 s[0:1], s[0:1], exec
	s_or_b64 s[12:13], s[12:13], s[0:1]
.LBB17_23:                              ;   in Loop: Header=BB17_13 Depth=1
	s_or_b64 exec, exec, s[14:15]
	s_and_saveexec_b64 s[0:1], s[12:13]
	s_cbranch_execz .LBB17_25
; %bb.24:                               ;   in Loop: Header=BB17_13 Depth=1
	v_mov_b32_e32 v18, v21
	s_waitcnt lgkmcnt(0)
	v_mov_b32_e32 v19, v20
.LBB17_25:                              ;   in Loop: Header=BB17_13 Depth=1
	s_or_b64 exec, exec, s[0:1]
	ds_bpermute_b32 v21, v15, v18
	s_waitcnt lgkmcnt(1)
	ds_bpermute_b32 v20, v15, v19
	s_waitcnt lgkmcnt(1)
	v_cmp_lt_f32_e64 s[12:13], v18, v21
	v_cmp_nlt_f32_e32 vcc, v18, v21
	s_and_saveexec_b64 s[14:15], vcc
	s_cbranch_execz .LBB17_27
; %bb.26:                               ;   in Loop: Header=BB17_13 Depth=1
	v_cmp_eq_f32_e32 vcc, v18, v21
	s_waitcnt lgkmcnt(0)
	v_cmp_lt_i32_e64 s[0:1], v20, v19
	s_and_b64 s[0:1], vcc, s[0:1]
	s_andn2_b64 s[12:13], s[12:13], exec
	s_and_b64 s[0:1], s[0:1], exec
	s_or_b64 s[12:13], s[12:13], s[0:1]
.LBB17_27:                              ;   in Loop: Header=BB17_13 Depth=1
	s_or_b64 exec, exec, s[14:15]
	s_and_saveexec_b64 s[0:1], s[12:13]
	s_cbranch_execz .LBB17_29
; %bb.28:                               ;   in Loop: Header=BB17_13 Depth=1
	v_mov_b32_e32 v18, v21
	s_waitcnt lgkmcnt(0)
	v_mov_b32_e32 v19, v20
.LBB17_29:                              ;   in Loop: Header=BB17_13 Depth=1
	s_or_b64 exec, exec, s[0:1]
	s_waitcnt lgkmcnt(0)
	ds_bpermute_b32 v20, v16, v18
	ds_bpermute_b32 v21, v16, v19
	s_waitcnt lgkmcnt(1)
	v_cmp_lt_f32_e64 s[12:13], v18, v20
	v_cmp_nlt_f32_e32 vcc, v18, v20
	s_and_saveexec_b64 s[14:15], vcc
	s_cbranch_execz .LBB17_31
; %bb.30:                               ;   in Loop: Header=BB17_13 Depth=1
	v_cmp_eq_f32_e32 vcc, v18, v20
	s_waitcnt lgkmcnt(0)
	v_cmp_lt_i32_e64 s[0:1], v21, v19
	s_and_b64 s[0:1], vcc, s[0:1]
	s_andn2_b64 s[12:13], s[12:13], exec
	s_and_b64 s[0:1], s[0:1], exec
	s_or_b64 s[12:13], s[12:13], s[0:1]
.LBB17_31:                              ;   in Loop: Header=BB17_13 Depth=1
	s_or_b64 exec, exec, s[14:15]
	s_and_saveexec_b64 s[0:1], s[12:13]
	s_cbranch_execz .LBB17_33
; %bb.32:                               ;   in Loop: Header=BB17_13 Depth=1
	v_mov_b32_e32 v18, v20
	s_waitcnt lgkmcnt(0)
	v_mov_b32_e32 v19, v21
.LBB17_33:                              ;   in Loop: Header=BB17_13 Depth=1
	s_or_b64 exec, exec, s[0:1]
	v_and_b32_e32 v20, 31, v19
	v_cmp_eq_u32_e32 vcc, v20, v2
	s_and_saveexec_b64 s[12:13], vcc
; %bb.34:                               ;   in Loop: Header=BB17_13 Depth=1
	v_ashrrev_i32_e32 v20, 31, v19
	v_lshrrev_b32_e32 v20, 27, v20
	v_add_u32_e32 v20, v19, v20
	v_ashrrev_i32_e32 v20, 5, v20
	v_cmp_ne_u32_e64 s[0:1], 1, v20
	s_nop 1
	v_cndmask_b32_e64 v1, v17, v1, s[0:1]
	v_cmp_ne_u32_e64 s[0:1], 0, v20
	s_nop 1
	v_cndmask_b32_e64 v10, v17, v10, s[0:1]
; %bb.35:                               ;   in Loop: Header=BB17_13 Depth=1
	s_or_b64 exec, exec, s[12:13]
	s_and_saveexec_b64 s[0:1], vcc
	s_cbranch_execz .LBB17_12
; %bb.36:                               ;   in Loop: Header=BB17_13 Depth=1
	v_add_f32_e32 v20, v8, v18
	v_cndmask_b32_e64 v8, v8, v20, s[8:9]
	global_store_dword v[6:7], v19, off
	s_branch .LBB17_12
.LBB17_37:
	s_waitcnt vmcnt(1)
	v_mov_b32_e32 v8, 0
	v_mov_b32_e32 v9, v8
	v_mov_b64_e32 v[4:5], v[8:9]
.LBB17_38:
	s_and_b64 vcc, exec, s[8:9]
	s_cbranch_vccz .LBB17_40
; %bb.39:
	s_waitcnt vmcnt(0)
	v_mbcnt_hi_u32_b32 v1, -1, v12
	v_and_b32_e32 v6, 0x60, v1
	v_add_u32_e32 v6, 32, v6
	v_xor_b32_e32 v7, 16, v1
	v_cmp_lt_i32_e32 vcc, v7, v6
	v_xor_b32_e32 v9, 8, v1
	s_nop 0
	v_cndmask_b32_e32 v7, v1, v7, vcc
	v_lshlrev_b32_e32 v7, 2, v7
	ds_bpermute_b32 v7, v7, v8
	v_cmp_lt_i32_e32 vcc, v9, v6
	s_waitcnt lgkmcnt(0)
	v_add_f32_e32 v7, v8, v7
	v_cndmask_b32_e32 v8, v1, v9, vcc
	v_lshlrev_b32_e32 v8, 2, v8
	ds_bpermute_b32 v8, v8, v7
	v_xor_b32_e32 v9, 4, v1
	v_cmp_lt_i32_e32 vcc, v9, v6
	s_waitcnt lgkmcnt(0)
	v_add_f32_e32 v7, v7, v8
	v_cndmask_b32_e32 v8, v1, v9, vcc
	v_lshlrev_b32_e32 v8, 2, v8
	ds_bpermute_b32 v8, v8, v7
	v_xor_b32_e32 v9, 2, v1
	;; [unrolled: 7-line block ×3, first 2 shown]
	v_cmp_lt_i32_e32 vcc, v9, v6
	v_max_f32_e64 v6, s6, s6
	s_waitcnt lgkmcnt(0)
	v_add_f32_e32 v7, v7, v8
	v_cndmask_b32_e32 v1, v1, v9, vcc
	v_lshlrev_b32_e32 v1, 2, v1
	ds_bpermute_b32 v1, v1, v7
	s_waitcnt lgkmcnt(0)
	v_add_f32_e32 v1, v7, v1
	v_max_f32_e32 v1, v1, v6
	v_div_scale_f32 v6, s[0:1], v1, v1, 1.0
	v_rcp_f32_e32 v7, v6
	v_div_scale_f32 v8, vcc, 1.0, v1, 1.0
	v_fma_f32 v9, -v6, v7, 1.0
	v_fmac_f32_e32 v7, v9, v7
	v_mul_f32_e32 v9, v8, v7
	v_fma_f32 v10, -v6, v9, v8
	v_fmac_f32_e32 v9, v10, v7
	v_fma_f32 v6, -v6, v9, v8
	v_div_fmas_f32 v6, v6, v7, v9
	v_div_fixup_f32 v6, v6, v1, 1.0
	v_pk_mul_f32 v[4:5], v[6:7], v[4:5] op_sel_hi:[0,1]
.LBB17_40:
	s_andn2_b64 vcc, exec, s[2:3]
	v_cmp_gt_i32_e64 s[0:1], s5, v11
	s_cbranch_vccnz .LBB17_42
; %bb.41:
	s_waitcnt vmcnt(0)
	v_max_f32_e32 v1, v4, v4
	v_max_f32_e32 v1, 0xff800000, v1
	v_mov_b32_e32 v6, 0xff800000
	v_cmp_gt_i32_e64 s[2:3], s5, v2
	s_mov_b32 s4, 0x3fb8aa3b
	s_mov_b32 s6, 0xc2ce8ed0
	v_cndmask_b32_e64 v1, v6, v1, s[2:3]
	v_max_f32_e32 v6, v5, v5
	v_max_f32_e32 v6, v1, v6
	v_cndmask_b32_e64 v1, v1, v6, s[0:1]
	v_mbcnt_hi_u32_b32 v6, -1, v12
	v_and_b32_e32 v7, 0x60, v6
	v_add_u32_e32 v7, 32, v7
	v_xor_b32_e32 v8, 16, v6
	v_cmp_lt_i32_e32 vcc, v8, v7
	s_mov_b32 s8, 0x42b17218
	s_nop 0
	v_cndmask_b32_e32 v8, v6, v8, vcc
	v_lshlrev_b32_e32 v8, 2, v8
	ds_bpermute_b32 v9, v8, v1
	s_waitcnt lgkmcnt(0)
	v_max_f32_e32 v9, v9, v9
	v_max_f32_e32 v1, v1, v9
	v_xor_b32_e32 v9, 8, v6
	v_cmp_lt_i32_e32 vcc, v9, v7
	s_nop 1
	v_cndmask_b32_e32 v9, v6, v9, vcc
	v_lshlrev_b32_e32 v9, 2, v9
	ds_bpermute_b32 v10, v9, v1
	s_waitcnt lgkmcnt(0)
	v_max_f32_e32 v10, v10, v10
	v_max_f32_e32 v1, v1, v10
	v_xor_b32_e32 v10, 4, v6
	v_cmp_lt_i32_e32 vcc, v10, v7
	;; [unrolled: 9-line block ×4, first 2 shown]
	s_nop 1
	v_cndmask_b32_e32 v6, v6, v13, vcc
	v_lshlrev_b32_e32 v6, 2, v6
	ds_bpermute_b32 v7, v6, v1
	s_waitcnt lgkmcnt(0)
	v_max_f32_e32 v7, v7, v7
	v_max_f32_e32 v1, v1, v7
	v_sub_f32_e32 v4, v4, v1
	v_mul_f32_e32 v7, 0x3fb8aa3b, v4
	v_fma_f32 v13, v4, s4, -v7
	v_rndne_f32_e32 v14, v7
	v_sub_f32_e32 v1, v5, v1
	v_fmac_f32_e32 v13, 0x32a5705f, v4
	v_sub_f32_e32 v7, v7, v14
	v_mul_f32_e32 v5, 0x3fb8aa3b, v1
	v_add_f32_e32 v7, v7, v13
	v_cvt_i32_f32_e32 v13, v14
	v_fma_f32 v14, v1, s4, -v5
	v_rndne_f32_e32 v15, v5
	v_exp_f32_e32 v7, v7
	v_fmac_f32_e32 v14, 0x32a5705f, v1
	v_sub_f32_e32 v5, v5, v15
	v_add_f32_e32 v5, v5, v14
	v_exp_f32_e32 v5, v5
	v_cvt_i32_f32_e32 v14, v15
	v_ldexp_f32 v7, v7, v13
	v_cmp_ngt_f32_e32 vcc, s6, v4
	v_mov_b32_e32 v13, 0x7f800000
	v_ldexp_f32 v5, v5, v14
	v_cndmask_b32_e32 v7, 0, v7, vcc
	v_cmp_nlt_f32_e32 vcc, s8, v4
	s_nop 1
	v_cndmask_b32_e32 v4, v13, v7, vcc
	v_cmp_ngt_f32_e32 vcc, s6, v1
	v_cndmask_b32_e64 v4, 0, v4, s[2:3]
	s_nop 0
	v_cndmask_b32_e32 v5, 0, v5, vcc
	v_cmp_nlt_f32_e32 vcc, s8, v1
	s_nop 1
	v_cndmask_b32_e32 v1, v13, v5, vcc
	v_add_f32_e32 v5, v1, v4
	v_cndmask_b32_e64 v5, v4, v5, s[0:1]
	ds_bpermute_b32 v7, v8, v5
	v_cndmask_b32_e64 v1, 0, v1, s[0:1]
	s_waitcnt lgkmcnt(0)
	v_add_f32_e32 v5, v5, v7
	ds_bpermute_b32 v7, v9, v5
	s_waitcnt lgkmcnt(0)
	v_add_f32_e32 v5, v5, v7
	ds_bpermute_b32 v7, v10, v5
	;; [unrolled: 3-line block ×4, first 2 shown]
	s_waitcnt lgkmcnt(0)
	v_add_f32_e32 v5, v5, v6
	v_div_scale_f32 v6, s[8:9], v5, v5, 1.0
	v_rcp_f32_e32 v7, v6
	s_nop 0
	v_fma_f32 v8, -v6, v7, 1.0
	v_fmac_f32_e32 v7, v8, v7
	v_div_scale_f32 v8, vcc, 1.0, v5, 1.0
	v_mul_f32_e32 v9, v8, v7
	v_fma_f32 v10, -v6, v9, v8
	v_fmac_f32_e32 v9, v10, v7
	v_fma_f32 v6, -v6, v9, v8
	v_div_fmas_f32 v6, v6, v7, v9
	v_div_fixup_f32 v5, v6, v5, 1.0
	v_mul_f32_e32 v6, v4, v5
	v_mul_f32_e32 v5, v1, v5
	v_cndmask_b32_e64 v4, v4, v6, s[2:3]
	v_cndmask_b32_e64 v5, v1, v5, s[0:1]
.LBB17_42:
	v_mul_lo_u32 v8, v3, s5
	v_mov_b32_e32 v6, s10
	v_mov_b32_e32 v7, s11
	v_ashrrev_i32_e32 v9, 31, v8
	v_lshl_add_u64 v[6:7], v[8:9], 2, v[6:7]
	v_cmp_gt_i32_e32 vcc, s5, v2
	s_and_saveexec_b64 s[0:1], vcc
	s_cbranch_execz .LBB17_44
; %bb.43:
	s_waitcnt vmcnt(0)
	v_mov_b32_e32 v1, 0
	v_lshl_add_u64 v[2:3], v[6:7], 0, v[0:1]
	v_mul_f32_e32 v1, s7, v4
	global_store_dword v[2:3], v1, off
.LBB17_44:
	s_or_b64 exec, exec, s[0:1]
	v_cmp_gt_i32_e32 vcc, s5, v11
	s_and_b64 exec, exec, vcc
	s_cbranch_execz .LBB17_46
; %bb.45:
	s_waitcnt vmcnt(0)
	v_mov_b32_e32 v1, 0
	v_lshl_add_u64 v[0:1], v[6:7], 0, v[0:1]
	v_mul_f32_e32 v2, s7, v5
	global_store_dword v[0:1], v2, off offset:128
.LBB17_46:
	s_endpgm
	.section	.rodata,"a",@progbits
	.p2align	6, 0x0
	.amdhsa_kernel _Z13topk_moe_cudaILi64ELb0EEvPKfPfPiS2_iiff15topk_moe_config
		.amdhsa_group_segment_fixed_size 0
		.amdhsa_private_segment_fixed_size 0
		.amdhsa_kernarg_size 312
		.amdhsa_user_sgpr_count 2
		.amdhsa_user_sgpr_dispatch_ptr 0
		.amdhsa_user_sgpr_queue_ptr 0
		.amdhsa_user_sgpr_kernarg_segment_ptr 1
		.amdhsa_user_sgpr_dispatch_id 0
		.amdhsa_user_sgpr_kernarg_preload_length 0
		.amdhsa_user_sgpr_kernarg_preload_offset 0
		.amdhsa_user_sgpr_private_segment_size 0
		.amdhsa_uses_dynamic_stack 0
		.amdhsa_enable_private_segment 0
		.amdhsa_system_sgpr_workgroup_id_x 1
		.amdhsa_system_sgpr_workgroup_id_y 0
		.amdhsa_system_sgpr_workgroup_id_z 0
		.amdhsa_system_sgpr_workgroup_info 0
		.amdhsa_system_vgpr_workitem_id 1
		.amdhsa_next_free_vgpr 22
		.amdhsa_next_free_sgpr 16
		.amdhsa_accum_offset 24
		.amdhsa_reserve_vcc 1
		.amdhsa_float_round_mode_32 0
		.amdhsa_float_round_mode_16_64 0
		.amdhsa_float_denorm_mode_32 3
		.amdhsa_float_denorm_mode_16_64 3
		.amdhsa_dx10_clamp 1
		.amdhsa_ieee_mode 1
		.amdhsa_fp16_overflow 0
		.amdhsa_tg_split 0
		.amdhsa_exception_fp_ieee_invalid_op 0
		.amdhsa_exception_fp_denorm_src 0
		.amdhsa_exception_fp_ieee_div_zero 0
		.amdhsa_exception_fp_ieee_overflow 0
		.amdhsa_exception_fp_ieee_underflow 0
		.amdhsa_exception_fp_ieee_inexact 0
		.amdhsa_exception_int_div_zero 0
	.end_amdhsa_kernel
	.section	.text._Z13topk_moe_cudaILi64ELb0EEvPKfPfPiS2_iiff15topk_moe_config,"axG",@progbits,_Z13topk_moe_cudaILi64ELb0EEvPKfPfPiS2_iiff15topk_moe_config,comdat
.Lfunc_end17:
	.size	_Z13topk_moe_cudaILi64ELb0EEvPKfPfPiS2_iiff15topk_moe_config, .Lfunc_end17-_Z13topk_moe_cudaILi64ELb0EEvPKfPfPiS2_iiff15topk_moe_config
                                        ; -- End function
	.set _Z13topk_moe_cudaILi64ELb0EEvPKfPfPiS2_iiff15topk_moe_config.num_vgpr, 22
	.set _Z13topk_moe_cudaILi64ELb0EEvPKfPfPiS2_iiff15topk_moe_config.num_agpr, 0
	.set _Z13topk_moe_cudaILi64ELb0EEvPKfPfPiS2_iiff15topk_moe_config.numbered_sgpr, 16
	.set _Z13topk_moe_cudaILi64ELb0EEvPKfPfPiS2_iiff15topk_moe_config.num_named_barrier, 0
	.set _Z13topk_moe_cudaILi64ELb0EEvPKfPfPiS2_iiff15topk_moe_config.private_seg_size, 0
	.set _Z13topk_moe_cudaILi64ELb0EEvPKfPfPiS2_iiff15topk_moe_config.uses_vcc, 1
	.set _Z13topk_moe_cudaILi64ELb0EEvPKfPfPiS2_iiff15topk_moe_config.uses_flat_scratch, 0
	.set _Z13topk_moe_cudaILi64ELb0EEvPKfPfPiS2_iiff15topk_moe_config.has_dyn_sized_stack, 0
	.set _Z13topk_moe_cudaILi64ELb0EEvPKfPfPiS2_iiff15topk_moe_config.has_recursion, 0
	.set _Z13topk_moe_cudaILi64ELb0EEvPKfPfPiS2_iiff15topk_moe_config.has_indirect_call, 0
	.section	.AMDGPU.csdata,"",@progbits
; Kernel info:
; codeLenInByte = 3248
; TotalNumSgprs: 22
; NumVgprs: 22
; NumAgprs: 0
; TotalNumVgprs: 22
; ScratchSize: 0
; MemoryBound: 0
; FloatMode: 240
; IeeeMode: 1
; LDSByteSize: 0 bytes/workgroup (compile time only)
; SGPRBlocks: 2
; VGPRBlocks: 2
; NumSGPRsForWavesPerEU: 22
; NumVGPRsForWavesPerEU: 22
; AccumOffset: 24
; Occupancy: 8
; WaveLimiterHint : 1
; COMPUTE_PGM_RSRC2:SCRATCH_EN: 0
; COMPUTE_PGM_RSRC2:USER_SGPR: 2
; COMPUTE_PGM_RSRC2:TRAP_HANDLER: 0
; COMPUTE_PGM_RSRC2:TGID_X_EN: 1
; COMPUTE_PGM_RSRC2:TGID_Y_EN: 0
; COMPUTE_PGM_RSRC2:TGID_Z_EN: 0
; COMPUTE_PGM_RSRC2:TIDIG_COMP_CNT: 1
; COMPUTE_PGM_RSRC3_GFX90A:ACCUM_OFFSET: 5
; COMPUTE_PGM_RSRC3_GFX90A:TG_SPLIT: 0
	.section	.text._Z13topk_moe_cudaILi128ELb0EEvPKfPfPiS2_iiff15topk_moe_config,"axG",@progbits,_Z13topk_moe_cudaILi128ELb0EEvPKfPfPiS2_iiff15topk_moe_config,comdat
	.protected	_Z13topk_moe_cudaILi128ELb0EEvPKfPfPiS2_iiff15topk_moe_config ; -- Begin function _Z13topk_moe_cudaILi128ELb0EEvPKfPfPiS2_iiff15topk_moe_config
	.globl	_Z13topk_moe_cudaILi128ELb0EEvPKfPfPiS2_iiff15topk_moe_config
	.p2align	8
	.type	_Z13topk_moe_cudaILi128ELb0EEvPKfPfPiS2_iiff15topk_moe_config,@function
_Z13topk_moe_cudaILi128ELb0EEvPKfPfPiS2_iiff15topk_moe_config: ; @_Z13topk_moe_cudaILi128ELb0EEvPKfPfPiS2_iiff15topk_moe_config
; %bb.0:
	s_load_dword s3, s[0:1], 0x44
	s_load_dwordx4 s[8:11], s[0:1], 0x20
	v_bfe_u32 v1, v0, 10, 10
	s_waitcnt lgkmcnt(0)
	s_lshr_b32 s3, s3, 16
	s_mul_i32 s2, s2, s3
	v_add_u32_e32 v9, s2, v1
	v_cmp_gt_i32_e32 vcc, s8, v9
	s_and_saveexec_b64 s[2:3], vcc
	s_cbranch_execz .LBB18_47
; %bb.1:
	s_load_dwordx4 s[12:15], s[0:1], 0x0
	v_mov_b32_e32 v11, 0
	v_lshlrev_b32_e32 v2, 7, v9
	global_load_ushort v1, v11, s[0:1] offset:48
	v_ashrrev_i32_e32 v3, 31, v2
	s_waitcnt lgkmcnt(0)
	v_mov_b32_e32 v4, s12
	v_mov_b32_e32 v5, s13
	v_and_b32_e32 v14, 0x3ff, v0
	v_lshl_add_u64 v[4:5], v[2:3], 2, v[4:5]
	v_lshlrev_b32_e32 v10, 2, v14
	v_lshl_add_u64 v[4:5], v[4:5], 0, v[10:11]
	global_load_dword v6, v[4:5], off
	global_load_dword v18, v[4:5], off offset:128
	global_load_dword v8, v[4:5], off offset:256
	global_load_dword v7, v[4:5], off offset:384
	s_load_dwordx2 s[4:5], s[0:1], 0x10
	s_nop 0
	s_load_dword s0, s[0:1], 0x30
	s_waitcnt vmcnt(4)
	v_readfirstlane_b32 s1, v1
	s_and_b32 s6, 0xffff, s1
	s_waitcnt lgkmcnt(0)
	s_bitcmp1_b32 s0, 16
	s_cselect_b64 s[2:3], -1, 0
	s_and_b64 vcc, exec, s[2:3]
	s_cbranch_vccnz .LBB18_7
; %bb.2:
	v_and_b32_e32 v0, 1, v1
	v_cmp_eq_u32_e32 vcc, 0, v0
	s_cbranch_vccz .LBB18_4
; %bb.3:
	v_mbcnt_lo_u32_b32 v1, -1, 0
	v_mbcnt_hi_u32_b32 v1, -1, v1
	v_and_b32_e32 v4, 0x60, v1
	v_add_u32_e32 v4, 32, v4
	v_xor_b32_e32 v5, 16, v1
	s_mov_b32 s0, 0xff800000
	v_cmp_lt_i32_e32 vcc, v5, v4
	s_waitcnt vmcnt(2)
	v_max3_f32 v0, v6, s0, v18
	s_waitcnt vmcnt(0)
	v_max3_f32 v0, v0, v8, v7
	v_cndmask_b32_e32 v5, v1, v5, vcc
	v_lshlrev_b32_e32 v11, 2, v5
	ds_bpermute_b32 v5, v11, v0
	s_mov_b32 s0, 0x3fb8aa3b
	s_mov_b32 s1, 0xc2ce8ed0
	;; [unrolled: 1-line block ×3, first 2 shown]
	s_waitcnt lgkmcnt(0)
	v_max_f32_e32 v5, v5, v5
	v_max_f32_e32 v0, v0, v5
	v_xor_b32_e32 v5, 8, v1
	v_cmp_lt_i32_e32 vcc, v5, v4
	s_nop 1
	v_cndmask_b32_e32 v5, v1, v5, vcc
	v_lshlrev_b32_e32 v12, 2, v5
	ds_bpermute_b32 v5, v12, v0
	s_waitcnt lgkmcnt(0)
	v_max_f32_e32 v5, v5, v5
	v_max_f32_e32 v0, v0, v5
	v_xor_b32_e32 v5, 4, v1
	v_cmp_lt_i32_e32 vcc, v5, v4
	s_nop 1
	v_cndmask_b32_e32 v5, v1, v5, vcc
	v_lshlrev_b32_e32 v13, 2, v5
	ds_bpermute_b32 v5, v13, v0
	;; [unrolled: 9-line block ×4, first 2 shown]
	s_waitcnt lgkmcnt(0)
	v_max_f32_e32 v1, v1, v1
	v_max_f32_e32 v4, v0, v1
	v_sub_f32_e32 v0, v6, v4
	v_mul_f32_e32 v1, 0x3fb8aa3b, v0
	v_fma_f32 v5, v0, s0, -v1
	v_rndne_f32_e32 v17, v1
	v_fmac_f32_e32 v5, 0x32a5705f, v0
	v_sub_f32_e32 v1, v1, v17
	v_add_f32_e32 v1, v1, v5
	v_exp_f32_e32 v1, v1
	v_cvt_i32_f32_e32 v5, v17
	v_cmp_ngt_f32_e32 vcc, s1, v0
	v_ldexp_f32 v1, v1, v5
	v_sub_f32_e32 v5, v18, v4
	v_mul_f32_e32 v17, 0x3fb8aa3b, v5
	v_fma_f32 v19, v5, s0, -v17
	v_rndne_f32_e32 v20, v17
	v_fmac_f32_e32 v19, 0x32a5705f, v5
	v_sub_f32_e32 v17, v17, v20
	v_add_f32_e32 v17, v17, v19
	v_exp_f32_e32 v17, v17
	v_cvt_i32_f32_e32 v19, v20
	v_cndmask_b32_e32 v1, 0, v1, vcc
	v_mov_b32_e32 v20, 0x7f800000
	v_cmp_nlt_f32_e32 vcc, s7, v0
	s_nop 1
	v_cndmask_b32_e32 v0, v20, v1, vcc
	v_ldexp_f32 v1, v17, v19
	v_sub_f32_e32 v17, v8, v4
	v_mul_f32_e32 v19, 0x3fb8aa3b, v17
	v_fma_f32 v21, v17, s0, -v19
	v_rndne_f32_e32 v22, v19
	v_fmac_f32_e32 v21, 0x32a5705f, v17
	v_sub_f32_e32 v19, v19, v22
	v_add_f32_e32 v19, v19, v21
	v_exp_f32_e32 v19, v19
	v_cvt_i32_f32_e32 v21, v22
	v_cmp_ngt_f32_e32 vcc, s1, v5
	v_ldexp_f32 v19, v19, v21
	v_sub_f32_e32 v21, v7, v4
	v_mul_f32_e32 v4, 0x3fb8aa3b, v21
	v_fma_f32 v22, v21, s0, -v4
	v_rndne_f32_e32 v23, v4
	v_fmac_f32_e32 v22, 0x32a5705f, v21
	v_sub_f32_e32 v4, v4, v23
	v_add_f32_e32 v4, v4, v22
	v_cndmask_b32_e32 v1, 0, v1, vcc
	v_cmp_nlt_f32_e32 vcc, s7, v5
	v_exp_f32_e32 v22, v4
	v_cvt_i32_f32_e32 v23, v23
	v_cndmask_b32_e32 v1, v20, v1, vcc
	v_cmp_ngt_f32_e32 vcc, s1, v17
	v_add_f32_e32 v5, v0, v1
	s_nop 0
	v_cndmask_b32_e32 v19, 0, v19, vcc
	v_cmp_nlt_f32_e32 vcc, s7, v17
	s_nop 1
	v_cndmask_b32_e32 v4, v20, v19, vcc
	v_add_f32_e32 v17, v4, v5
	v_ldexp_f32 v5, v22, v23
	v_cmp_ngt_f32_e32 vcc, s1, v21
	s_nop 1
	v_cndmask_b32_e32 v5, 0, v5, vcc
	v_cmp_nlt_f32_e32 vcc, s7, v21
	s_nop 1
	v_cndmask_b32_e32 v5, v20, v5, vcc
	v_add_f32_e32 v17, v5, v17
	ds_bpermute_b32 v11, v11, v17
	s_waitcnt lgkmcnt(0)
	v_add_f32_e32 v11, v17, v11
	ds_bpermute_b32 v12, v12, v11
	s_waitcnt lgkmcnt(0)
	;; [unrolled: 3-line block ×5, first 2 shown]
	v_add_f32_e32 v11, v11, v12
	v_div_scale_f32 v12, s[0:1], v11, v11, 1.0
	v_rcp_f32_e32 v13, v12
	s_nop 0
	v_fma_f32 v15, -v12, v13, 1.0
	v_fmac_f32_e32 v13, v15, v13
	v_div_scale_f32 v15, vcc, 1.0, v11, 1.0
	v_mul_f32_e32 v16, v15, v13
	v_fma_f32 v17, -v12, v16, v15
	v_fmac_f32_e32 v16, v17, v13
	v_fma_f32 v12, -v12, v16, v15
	v_div_fmas_f32 v12, v12, v13, v16
	v_div_fixup_f32 v12, v12, v11, 1.0
	v_pk_mul_f32 v[4:5], v[4:5], v[12:13] op_sel_hi:[1,0]
	v_pk_mul_f32 v[0:1], v[0:1], v[12:13] op_sel_hi:[1,0]
	s_cbranch_execz .LBB18_5
	s_branch .LBB18_6
.LBB18_4:
                                        ; implicit-def: $vgpr5
                                        ; implicit-def: $vgpr1
.LBB18_5:
	s_waitcnt vmcnt(3)
	v_mul_f32_e32 v0, 0xbfb8aa3b, v6
	s_mov_b32 s0, 0xbfb8aa3b
	v_rndne_f32_e32 v1, v0
	v_sub_f32_e32 v4, v0, v1
	v_fma_f32 v0, v6, s0, -v0
	v_fmac_f32_e32 v0, 0xb2a5705f, v6
	v_add_f32_e32 v0, v4, v0
	v_exp_f32_e32 v0, v0
	v_cvt_i32_f32_e32 v1, v1
	s_mov_b32 s1, 0x42ce8ed0
	v_cmp_nlt_f32_e32 vcc, s1, v6
	s_mov_b32 s7, 0xc2b17218
	v_ldexp_f32 v0, v0, v1
	s_waitcnt vmcnt(2)
	v_mul_f32_e32 v1, 0xbfb8aa3b, v18
	v_rndne_f32_e32 v4, v1
	v_sub_f32_e32 v5, v1, v4
	v_fma_f32 v1, v18, s0, -v1
	v_fmac_f32_e32 v1, 0xb2a5705f, v18
	v_add_f32_e32 v1, v5, v1
	v_exp_f32_e32 v1, v1
	v_cvt_i32_f32_e32 v4, v4
	v_cndmask_b32_e32 v0, 0, v0, vcc
	v_cmp_ngt_f32_e32 vcc, s7, v6
	v_mov_b32_e32 v5, 0x7f800000
	v_ldexp_f32 v1, v1, v4
	s_waitcnt vmcnt(1)
	v_mul_f32_e32 v4, 0xbfb8aa3b, v8
	v_rndne_f32_e32 v6, v4
	v_sub_f32_e32 v11, v4, v6
	v_fma_f32 v4, v8, s0, -v4
	v_fmac_f32_e32 v4, 0xb2a5705f, v8
	v_add_f32_e32 v4, v11, v4
	v_exp_f32_e32 v4, v4
	v_cvt_i32_f32_e32 v6, v6
	v_cndmask_b32_e32 v0, v5, v0, vcc
	v_cmp_nlt_f32_e32 vcc, s1, v18
	v_ldexp_f32 v4, v4, v6
	s_waitcnt vmcnt(0)
	v_mul_f32_e32 v6, 0xbfb8aa3b, v7
	v_rndne_f32_e32 v11, v6
	v_sub_f32_e32 v12, v6, v11
	v_fma_f32 v6, v7, s0, -v6
	v_fmac_f32_e32 v6, 0xb2a5705f, v7
	v_add_f32_e32 v6, v12, v6
	v_cndmask_b32_e32 v1, 0, v1, vcc
	v_cmp_ngt_f32_e32 vcc, s7, v18
	v_exp_f32_e32 v6, v6
	v_cvt_i32_f32_e32 v11, v11
	v_cndmask_b32_e32 v1, v5, v1, vcc
	v_cmp_nlt_f32_e32 vcc, s1, v8
	v_pk_add_f32 v[0:1], v[0:1], 1.0 op_sel_hi:[1,0]
	v_ldexp_f32 v6, v6, v11
	v_cndmask_b32_e32 v4, 0, v4, vcc
	v_cmp_ngt_f32_e32 vcc, s7, v8
	s_nop 1
	v_cndmask_b32_e32 v4, v5, v4, vcc
	v_cmp_nlt_f32_e32 vcc, s1, v7
	v_div_scale_f32 v8, s[0:1], v0, v0, 1.0
	v_rcp_f32_e32 v11, v8
	v_cndmask_b32_e32 v6, 0, v6, vcc
	v_cmp_ngt_f32_e32 vcc, s7, v7
	s_nop 1
	v_cndmask_b32_e32 v5, v5, v6, vcc
	v_fma_f32 v6, -v8, v11, 1.0
	v_fmac_f32_e32 v11, v6, v11
	v_div_scale_f32 v6, vcc, 1.0, v0, 1.0
	v_mul_f32_e32 v7, v6, v11
	v_fma_f32 v12, -v8, v7, v6
	v_fmac_f32_e32 v7, v12, v11
	v_fma_f32 v6, -v8, v7, v6
	v_div_scale_f32 v8, s[0:1], v1, v1, 1.0
	v_rcp_f32_e32 v12, v8
	v_div_fmas_f32 v6, v6, v11, v7
	v_div_fixup_f32 v0, v6, v0, 1.0
	v_pk_add_f32 v[4:5], v[4:5], 1.0 op_sel_hi:[1,0]
	v_fma_f32 v6, -v8, v12, 1.0
	v_fmac_f32_e32 v12, v6, v12
	v_div_scale_f32 v6, vcc, 1.0, v1, 1.0
	v_mul_f32_e32 v7, v6, v12
	v_fma_f32 v11, -v8, v7, v6
	v_fmac_f32_e32 v7, v11, v12
	v_fma_f32 v6, -v8, v7, v6
	v_div_scale_f32 v8, s[0:1], v4, v4, 1.0
	v_rcp_f32_e32 v11, v8
	v_div_fmas_f32 v6, v6, v12, v7
	v_div_fixup_f32 v1, v6, v1, 1.0
	v_fma_f32 v6, -v8, v11, 1.0
	v_fmac_f32_e32 v11, v6, v11
	v_div_scale_f32 v6, vcc, 1.0, v4, 1.0
	v_mul_f32_e32 v7, v6, v11
	v_fma_f32 v12, -v8, v7, v6
	v_fmac_f32_e32 v7, v12, v11
	v_fma_f32 v6, -v8, v7, v6
	v_div_scale_f32 v8, s[0:1], v5, v5, 1.0
	v_rcp_f32_e32 v12, v8
	v_div_fmas_f32 v6, v6, v11, v7
	v_div_fixup_f32 v4, v6, v4, 1.0
	v_fma_f32 v6, -v8, v12, 1.0
	v_fmac_f32_e32 v12, v6, v12
	v_div_scale_f32 v6, vcc, 1.0, v5, 1.0
	v_mul_f32_e32 v7, v6, v12
	v_fma_f32 v11, -v8, v7, v6
	v_fmac_f32_e32 v7, v11, v12
	v_fma_f32 v6, -v8, v7, v6
	v_div_fmas_f32 v6, v6, v12, v7
	v_div_fixup_f32 v5, v6, v5, 1.0
.LBB18_6:
	s_waitcnt vmcnt(3)
	v_mov_b32_e32 v6, v0
	s_waitcnt vmcnt(2)
	v_mov_b32_e32 v18, v1
	;; [unrolled: 2-line block ×4, first 2 shown]
.LBB18_7:
	s_lshr_b32 s12, s6, 8
	s_cmp_gt_i32 s9, 0
	s_cbranch_scc1 .LBB18_9
; %bb.8:
	s_bitcmp1_b32 s12, 0
	s_mov_b64 s[0:1], 0
	s_cselect_b64 s[6:7], -1, 0
	s_branch .LBB18_10
.LBB18_9:
	s_mov_b64 s[0:1], -1
                                        ; implicit-def: $sgpr6_sgpr7
.LBB18_10:
	v_add_u32_e32 v17, 32, v14
	v_add_u32_e32 v16, 64, v14
	;; [unrolled: 1-line block ×3, first 2 shown]
	s_mov_b32 s8, 0
	s_andn2_b64 vcc, exec, s[0:1]
	v_mbcnt_lo_u32_b32 v11, -1, 0
	s_cbranch_vccnz .LBB18_37
; %bb.11:
	v_mov_b32_e32 v0, s4
	v_mov_b32_e32 v1, s5
	v_lshl_add_u64 v[12:13], v[2:3], 2, v[0:1]
	v_mov_b32_e32 v0, 0xff7fffff
	s_waitcnt vmcnt(3)
	v_cmp_o_f32_e32 vcc, v6, v6
	s_bitcmp1_b32 s12, 0
	s_cselect_b64 s[6:7], -1, 0
	v_cndmask_b32_e32 v6, v0, v6, vcc
	s_waitcnt vmcnt(2)
	v_cmp_o_f32_e32 vcc, v18, v18
	v_mov_b32_e32 v4, 0
	v_mov_b32_e32 v23, 0xff800000
	v_cndmask_b32_e32 v5, v0, v18, vcc
	s_waitcnt vmcnt(1)
	v_cmp_o_f32_e32 vcc, v8, v8
	v_mov_b32_e32 v3, 0
	s_nop 0
	v_cndmask_b32_e32 v8, v0, v8, vcc
	s_waitcnt vmcnt(0)
	v_cmp_o_f32_e32 vcc, v7, v7
	s_nop 1
	v_cndmask_b32_e32 v7, v0, v7, vcc
	v_mbcnt_hi_u32_b32 v0, -1, v11
	v_and_b32_e32 v1, 0x60, v0
	v_add_u32_e32 v1, 32, v1
	v_xor_b32_e32 v2, 16, v0
	v_cmp_lt_i32_e32 vcc, v2, v1
	s_nop 1
	v_cndmask_b32_e32 v2, v0, v2, vcc
	v_lshlrev_b32_e32 v18, 2, v2
	v_xor_b32_e32 v2, 8, v0
	v_cmp_lt_i32_e32 vcc, v2, v1
	s_nop 1
	v_cndmask_b32_e32 v2, v0, v2, vcc
	v_lshlrev_b32_e32 v19, 2, v2
	;; [unrolled: 5-line block ×4, first 2 shown]
	v_xor_b32_e32 v2, 1, v0
	v_cmp_lt_i32_e32 vcc, v2, v1
	v_mov_b32_e32 v1, 0
	s_nop 0
	v_cndmask_b32_e32 v0, v0, v2, vcc
	v_lshlrev_b32_e32 v22, 2, v0
	v_mov_b32_e32 v0, 0
	v_mov_b32_e32 v2, 0
	s_branch .LBB18_13
.LBB18_12:                              ;   in Loop: Header=BB18_13 Depth=1
	s_or_b64 exec, exec, s[0:1]
	s_and_b32 s0, s8, 31
	s_lshr_b32 s1, s8, 5
	s_cmp_eq_u32 s1, 0
	s_cselect_b64 vcc, -1, 0
	s_cmp_eq_u32 s1, 1
	v_cndmask_b32_e32 v25, v0, v24, vcc
	s_cselect_b64 vcc, -1, 0
	s_cmp_eq_u32 s1, 2
	v_cndmask_b32_e32 v26, v1, v24, vcc
	s_cselect_b64 vcc, -1, 0
	s_cmp_eq_u32 s1, 3
	s_waitcnt lgkmcnt(0)
	v_cndmask_b32_e32 v27, v2, v24, vcc
	s_cselect_b64 vcc, -1, 0
	v_cndmask_b32_e32 v24, v3, v24, vcc
	v_cmp_eq_u32_e32 vcc, s0, v14
	s_add_i32 s8, s8, 1
	s_cmp_eq_u32 s9, s8
	v_cndmask_b32_e32 v3, v3, v24, vcc
	v_cndmask_b32_e32 v2, v2, v27, vcc
	;; [unrolled: 1-line block ×4, first 2 shown]
	v_lshl_add_u64 v[12:13], v[12:13], 0, 4
	s_cbranch_scc1 .LBB18_38
.LBB18_13:                              ; =>This Inner Loop Header: Depth=1
	v_cmp_gt_f32_e32 vcc, v5, v6
	s_nop 1
	v_cndmask_b32_e32 v24, v6, v5, vcc
	v_cndmask_b32_e32 v25, v14, v17, vcc
	v_cmp_gt_f32_e32 vcc, v8, v24
	s_nop 1
	v_cndmask_b32_e32 v24, v24, v8, vcc
	v_cndmask_b32_e32 v25, v25, v16, vcc
	v_cmp_gt_f32_e32 vcc, v7, v24
	s_nop 1
	v_cndmask_b32_e32 v24, v24, v7, vcc
	ds_bpermute_b32 v26, v18, v24
	v_cndmask_b32_e32 v25, v25, v15, vcc
	ds_bpermute_b32 v27, v18, v25
	s_waitcnt lgkmcnt(1)
	v_cmp_lt_f32_e64 s[4:5], v24, v26
	v_cmp_nlt_f32_e32 vcc, v24, v26
	s_and_saveexec_b64 s[12:13], vcc
	s_cbranch_execz .LBB18_15
; %bb.14:                               ;   in Loop: Header=BB18_13 Depth=1
	v_cmp_eq_f32_e32 vcc, v24, v26
	s_waitcnt lgkmcnt(0)
	v_cmp_lt_i32_e64 s[0:1], v27, v25
	s_and_b64 s[0:1], vcc, s[0:1]
	s_andn2_b64 s[4:5], s[4:5], exec
	s_and_b64 s[0:1], s[0:1], exec
	s_or_b64 s[4:5], s[4:5], s[0:1]
.LBB18_15:                              ;   in Loop: Header=BB18_13 Depth=1
	s_or_b64 exec, exec, s[12:13]
	s_and_saveexec_b64 s[0:1], s[4:5]
	s_cbranch_execz .LBB18_17
; %bb.16:                               ;   in Loop: Header=BB18_13 Depth=1
	v_mov_b32_e32 v24, v26
	s_waitcnt lgkmcnt(0)
	v_mov_b32_e32 v25, v27
.LBB18_17:                              ;   in Loop: Header=BB18_13 Depth=1
	s_or_b64 exec, exec, s[0:1]
	s_waitcnt lgkmcnt(0)
	ds_bpermute_b32 v27, v19, v24
	ds_bpermute_b32 v26, v19, v25
	s_waitcnt lgkmcnt(1)
	v_cmp_lt_f32_e64 s[4:5], v24, v27
	v_cmp_nlt_f32_e32 vcc, v24, v27
	s_and_saveexec_b64 s[12:13], vcc
	s_cbranch_execz .LBB18_19
; %bb.18:                               ;   in Loop: Header=BB18_13 Depth=1
	v_cmp_eq_f32_e32 vcc, v24, v27
	s_waitcnt lgkmcnt(0)
	v_cmp_lt_i32_e64 s[0:1], v26, v25
	s_and_b64 s[0:1], vcc, s[0:1]
	s_andn2_b64 s[4:5], s[4:5], exec
	s_and_b64 s[0:1], s[0:1], exec
	s_or_b64 s[4:5], s[4:5], s[0:1]
.LBB18_19:                              ;   in Loop: Header=BB18_13 Depth=1
	s_or_b64 exec, exec, s[12:13]
	s_and_saveexec_b64 s[0:1], s[4:5]
	s_cbranch_execz .LBB18_21
; %bb.20:                               ;   in Loop: Header=BB18_13 Depth=1
	v_mov_b32_e32 v24, v27
	s_waitcnt lgkmcnt(0)
	v_mov_b32_e32 v25, v26
.LBB18_21:                              ;   in Loop: Header=BB18_13 Depth=1
	s_or_b64 exec, exec, s[0:1]
	ds_bpermute_b32 v27, v20, v24
	s_waitcnt lgkmcnt(1)
	ds_bpermute_b32 v26, v20, v25
	s_waitcnt lgkmcnt(1)
	v_cmp_lt_f32_e64 s[4:5], v24, v27
	v_cmp_nlt_f32_e32 vcc, v24, v27
	s_and_saveexec_b64 s[12:13], vcc
	s_cbranch_execz .LBB18_23
; %bb.22:                               ;   in Loop: Header=BB18_13 Depth=1
	v_cmp_eq_f32_e32 vcc, v24, v27
	s_waitcnt lgkmcnt(0)
	v_cmp_lt_i32_e64 s[0:1], v26, v25
	s_and_b64 s[0:1], vcc, s[0:1]
	s_andn2_b64 s[4:5], s[4:5], exec
	s_and_b64 s[0:1], s[0:1], exec
	s_or_b64 s[4:5], s[4:5], s[0:1]
.LBB18_23:                              ;   in Loop: Header=BB18_13 Depth=1
	s_or_b64 exec, exec, s[12:13]
	s_and_saveexec_b64 s[0:1], s[4:5]
	s_cbranch_execz .LBB18_25
; %bb.24:                               ;   in Loop: Header=BB18_13 Depth=1
	v_mov_b32_e32 v24, v27
	s_waitcnt lgkmcnt(0)
	v_mov_b32_e32 v25, v26
.LBB18_25:                              ;   in Loop: Header=BB18_13 Depth=1
	s_or_b64 exec, exec, s[0:1]
	ds_bpermute_b32 v27, v21, v24
	s_waitcnt lgkmcnt(1)
	ds_bpermute_b32 v26, v21, v25
	s_waitcnt lgkmcnt(1)
	v_cmp_lt_f32_e64 s[4:5], v24, v27
	v_cmp_nlt_f32_e32 vcc, v24, v27
	s_and_saveexec_b64 s[12:13], vcc
	s_cbranch_execz .LBB18_27
; %bb.26:                               ;   in Loop: Header=BB18_13 Depth=1
	v_cmp_eq_f32_e32 vcc, v24, v27
	s_waitcnt lgkmcnt(0)
	v_cmp_lt_i32_e64 s[0:1], v26, v25
	s_and_b64 s[0:1], vcc, s[0:1]
	s_andn2_b64 s[4:5], s[4:5], exec
	s_and_b64 s[0:1], s[0:1], exec
	s_or_b64 s[4:5], s[4:5], s[0:1]
.LBB18_27:                              ;   in Loop: Header=BB18_13 Depth=1
	s_or_b64 exec, exec, s[12:13]
	s_and_saveexec_b64 s[0:1], s[4:5]
	s_cbranch_execz .LBB18_29
; %bb.28:                               ;   in Loop: Header=BB18_13 Depth=1
	v_mov_b32_e32 v24, v27
	s_waitcnt lgkmcnt(0)
	v_mov_b32_e32 v25, v26
.LBB18_29:                              ;   in Loop: Header=BB18_13 Depth=1
	s_or_b64 exec, exec, s[0:1]
	s_waitcnt lgkmcnt(0)
	ds_bpermute_b32 v26, v22, v24
	ds_bpermute_b32 v27, v22, v25
	s_waitcnt lgkmcnt(1)
	v_cmp_lt_f32_e64 s[4:5], v24, v26
	v_cmp_nlt_f32_e32 vcc, v24, v26
	s_and_saveexec_b64 s[12:13], vcc
	s_cbranch_execz .LBB18_31
; %bb.30:                               ;   in Loop: Header=BB18_13 Depth=1
	v_cmp_eq_f32_e32 vcc, v24, v26
	s_waitcnt lgkmcnt(0)
	v_cmp_lt_i32_e64 s[0:1], v27, v25
	s_and_b64 s[0:1], vcc, s[0:1]
	s_andn2_b64 s[4:5], s[4:5], exec
	s_and_b64 s[0:1], s[0:1], exec
	s_or_b64 s[4:5], s[4:5], s[0:1]
.LBB18_31:                              ;   in Loop: Header=BB18_13 Depth=1
	s_or_b64 exec, exec, s[12:13]
	s_and_saveexec_b64 s[0:1], s[4:5]
	s_cbranch_execz .LBB18_33
; %bb.32:                               ;   in Loop: Header=BB18_13 Depth=1
	v_mov_b32_e32 v24, v26
	s_waitcnt lgkmcnt(0)
	v_mov_b32_e32 v25, v27
.LBB18_33:                              ;   in Loop: Header=BB18_13 Depth=1
	s_or_b64 exec, exec, s[0:1]
	v_and_b32_e32 v26, 31, v25
	v_cmp_eq_u32_e32 vcc, v26, v14
	s_and_saveexec_b64 s[4:5], vcc
	s_cbranch_execz .LBB18_35
; %bb.34:                               ;   in Loop: Header=BB18_13 Depth=1
	v_ashrrev_i32_e32 v26, 31, v25
	v_lshrrev_b32_e32 v26, 27, v26
	v_add_u32_e32 v26, v25, v26
	v_ashrrev_i32_e32 v26, 5, v26
	v_cmp_ne_u32_e64 s[0:1], 3, v26
	s_nop 1
	v_cndmask_b32_e64 v7, v23, v7, s[0:1]
	v_cmp_ne_u32_e64 s[0:1], 2, v26
	s_nop 1
	v_cndmask_b32_e64 v8, v23, v8, s[0:1]
	;; [unrolled: 3-line block ×4, first 2 shown]
.LBB18_35:                              ;   in Loop: Header=BB18_13 Depth=1
	s_or_b64 exec, exec, s[4:5]
	s_and_saveexec_b64 s[0:1], vcc
	s_cbranch_execz .LBB18_12
; %bb.36:                               ;   in Loop: Header=BB18_13 Depth=1
	v_add_f32_e32 v26, v4, v24
	v_cndmask_b32_e64 v4, v4, v26, s[6:7]
	global_store_dword v[12:13], v25, off
	s_branch .LBB18_12
.LBB18_37:
	v_mov_b32_e32 v4, 0
	v_mov_b32_e32 v5, v4
	s_waitcnt vmcnt(3)
	v_mov_b32_e32 v6, v4
	s_waitcnt vmcnt(0)
	v_mov_b32_e32 v7, v4
	v_mov_b64_e32 v[0:1], v[4:5]
	v_mov_b64_e32 v[2:3], v[6:7]
.LBB18_38:
	s_and_b64 vcc, exec, s[6:7]
	s_cbranch_vccz .LBB18_40
; %bb.39:
	v_mbcnt_hi_u32_b32 v5, -1, v11
	v_and_b32_e32 v6, 0x60, v5
	v_add_u32_e32 v6, 32, v6
	v_xor_b32_e32 v7, 16, v5
	v_cmp_lt_i32_e32 vcc, v7, v6
	v_xor_b32_e32 v8, 8, v5
	s_nop 0
	v_cndmask_b32_e32 v7, v5, v7, vcc
	v_lshlrev_b32_e32 v7, 2, v7
	ds_bpermute_b32 v7, v7, v4
	v_cmp_lt_i32_e32 vcc, v8, v6
	s_waitcnt lgkmcnt(0)
	v_add_f32_e32 v4, v4, v7
	v_cndmask_b32_e32 v7, v5, v8, vcc
	v_lshlrev_b32_e32 v7, 2, v7
	ds_bpermute_b32 v7, v7, v4
	v_xor_b32_e32 v8, 4, v5
	v_cmp_lt_i32_e32 vcc, v8, v6
	s_waitcnt lgkmcnt(0)
	v_add_f32_e32 v4, v4, v7
	v_cndmask_b32_e32 v7, v5, v8, vcc
	v_lshlrev_b32_e32 v7, 2, v7
	ds_bpermute_b32 v7, v7, v4
	v_xor_b32_e32 v8, 2, v5
	;; [unrolled: 7-line block ×3, first 2 shown]
	v_cmp_lt_i32_e32 vcc, v8, v6
	v_max_f32_e64 v6, s10, s10
	s_waitcnt lgkmcnt(0)
	v_add_f32_e32 v4, v4, v7
	v_cndmask_b32_e32 v5, v5, v8, vcc
	v_lshlrev_b32_e32 v5, 2, v5
	ds_bpermute_b32 v5, v5, v4
	s_waitcnt lgkmcnt(0)
	v_add_f32_e32 v4, v4, v5
	v_max_f32_e32 v4, v4, v6
	v_div_scale_f32 v5, s[0:1], v4, v4, 1.0
	v_rcp_f32_e32 v6, v5
	v_div_scale_f32 v7, vcc, 1.0, v4, 1.0
	v_fma_f32 v8, -v5, v6, 1.0
	v_fmac_f32_e32 v6, v8, v6
	v_mul_f32_e32 v8, v7, v6
	v_fma_f32 v12, -v5, v8, v7
	v_fmac_f32_e32 v8, v12, v6
	v_fma_f32 v5, -v5, v8, v7
	v_div_fmas_f32 v5, v5, v6, v8
	v_div_fixup_f32 v4, v5, v4, 1.0
	v_pk_mul_f32 v[2:3], v[4:5], v[2:3] op_sel_hi:[0,1]
	v_pk_mul_f32 v[0:1], v[4:5], v[0:1] op_sel_hi:[0,1]
.LBB18_40:
	s_andn2_b64 vcc, exec, s[2:3]
	v_cmp_gt_i32_e64 s[4:5], s9, v17
	v_cmp_gt_i32_e64 s[2:3], s9, v16
	;; [unrolled: 1-line block ×4, first 2 shown]
	s_cbranch_vccnz .LBB18_42
; %bb.41:
	v_max_f32_e32 v4, v0, v0
	v_max_f32_e32 v4, 0xff800000, v4
	v_mov_b32_e32 v5, 0xff800000
	v_cndmask_b32_e64 v4, v5, v4, s[6:7]
	v_max_f32_e32 v5, v1, v1
	v_max_f32_e32 v5, v4, v5
	v_cndmask_b32_e64 v4, v4, v5, s[4:5]
	v_max_f32_e32 v5, v2, v2
	v_max_f32_e32 v5, v4, v5
	;; [unrolled: 3-line block ×3, first 2 shown]
	v_cndmask_b32_e64 v4, v4, v5, s[0:1]
	v_mbcnt_hi_u32_b32 v5, -1, v11
	v_and_b32_e32 v6, 0x60, v5
	v_add_u32_e32 v6, 32, v6
	v_xor_b32_e32 v7, 16, v5
	v_cmp_lt_i32_e32 vcc, v7, v6
	s_mov_b32 s8, 0x3fb8aa3b
	s_mov_b32 s10, 0xc2ce8ed0
	v_cndmask_b32_e32 v7, v5, v7, vcc
	v_lshlrev_b32_e32 v7, 2, v7
	ds_bpermute_b32 v8, v7, v4
	s_mov_b32 s12, 0x42b17218
	s_waitcnt lgkmcnt(0)
	v_max_f32_e32 v8, v8, v8
	v_max_f32_e32 v4, v4, v8
	v_xor_b32_e32 v8, 8, v5
	v_cmp_lt_i32_e32 vcc, v8, v6
	s_nop 1
	v_cndmask_b32_e32 v8, v5, v8, vcc
	v_lshlrev_b32_e32 v8, 2, v8
	ds_bpermute_b32 v11, v8, v4
	s_waitcnt lgkmcnt(0)
	v_max_f32_e32 v11, v11, v11
	v_max_f32_e32 v4, v4, v11
	v_xor_b32_e32 v11, 4, v5
	v_cmp_lt_i32_e32 vcc, v11, v6
	s_nop 1
	v_cndmask_b32_e32 v11, v5, v11, vcc
	v_lshlrev_b32_e32 v11, 2, v11
	ds_bpermute_b32 v12, v11, v4
	;; [unrolled: 9-line block ×4, first 2 shown]
	s_waitcnt lgkmcnt(0)
	v_max_f32_e32 v6, v6, v6
	v_max_f32_e32 v4, v4, v6
	v_sub_f32_e32 v0, v0, v4
	v_mul_f32_e32 v6, 0x3fb8aa3b, v0
	v_fma_f32 v13, v0, s8, -v6
	v_rndne_f32_e32 v18, v6
	v_fmac_f32_e32 v13, 0x32a5705f, v0
	v_sub_f32_e32 v6, v6, v18
	v_sub_f32_e32 v1, v1, v4
	v_add_f32_e32 v6, v6, v13
	v_cvt_i32_f32_e32 v13, v18
	v_mul_f32_e32 v18, 0x3fb8aa3b, v1
	v_fma_f32 v19, v1, s8, -v18
	v_rndne_f32_e32 v20, v18
	v_exp_f32_e32 v6, v6
	v_fmac_f32_e32 v19, 0x32a5705f, v1
	v_sub_f32_e32 v18, v18, v20
	v_add_f32_e32 v18, v18, v19
	v_exp_f32_e32 v18, v18
	v_cvt_i32_f32_e32 v19, v20
	v_ldexp_f32 v6, v6, v13
	v_cmp_ngt_f32_e32 vcc, s10, v0
	v_mov_b32_e32 v13, 0x7f800000
	v_sub_f32_e32 v2, v2, v4
	v_cndmask_b32_e32 v6, 0, v6, vcc
	v_cmp_nlt_f32_e32 vcc, s12, v0
	v_sub_f32_e32 v3, v3, v4
	v_mul_f32_e32 v4, 0x3fb8aa3b, v3
	v_cndmask_b32_e32 v0, v13, v6, vcc
	v_ldexp_f32 v6, v18, v19
	v_mul_f32_e32 v18, 0x3fb8aa3b, v2
	v_fma_f32 v19, v2, s8, -v18
	v_rndne_f32_e32 v20, v18
	v_fmac_f32_e32 v19, 0x32a5705f, v2
	v_sub_f32_e32 v18, v18, v20
	v_add_f32_e32 v18, v18, v19
	v_exp_f32_e32 v18, v18
	v_cvt_i32_f32_e32 v19, v20
	v_rndne_f32_e32 v20, v4
	v_cmp_ngt_f32_e32 vcc, s10, v1
	v_cndmask_b32_e64 v0, 0, v0, s[6:7]
	v_ldexp_f32 v18, v18, v19
	v_fma_f32 v19, v3, s8, -v4
	v_fmac_f32_e32 v19, 0x32a5705f, v3
	v_sub_f32_e32 v4, v4, v20
	v_cndmask_b32_e32 v6, 0, v6, vcc
	v_cmp_nlt_f32_e32 vcc, s12, v1
	v_add_f32_e32 v4, v4, v19
	v_exp_f32_e32 v4, v4
	v_cndmask_b32_e32 v6, v13, v6, vcc
	v_cmp_ngt_f32_e32 vcc, s10, v2
	v_cvt_i32_f32_e32 v19, v20
	v_add_f32_e32 v1, v6, v0
	v_cndmask_b32_e32 v18, 0, v18, vcc
	v_cmp_nlt_f32_e32 vcc, s12, v2
	v_cndmask_b32_e64 v1, v0, v1, s[4:5]
	s_mov_b32 s8, 0
	v_cndmask_b32_e32 v18, v13, v18, vcc
	v_add_f32_e32 v2, v1, v18
	v_cndmask_b32_e64 v1, v1, v2, s[2:3]
	v_ldexp_f32 v2, v4, v19
	v_cmp_ngt_f32_e32 vcc, s10, v3
	s_nop 1
	v_cndmask_b32_e32 v2, 0, v2, vcc
	v_cmp_nlt_f32_e32 vcc, s12, v3
	s_nop 1
	v_cndmask_b32_e32 v4, v13, v2, vcc
	v_add_f32_e32 v2, v1, v4
	v_cndmask_b32_e64 v1, v1, v2, s[0:1]
	ds_bpermute_b32 v2, v7, v1
	v_cndmask_b32_e64 v7, 0, v18, s[2:3]
	s_waitcnt lgkmcnt(0)
	v_add_f32_e32 v1, v1, v2
	ds_bpermute_b32 v2, v8, v1
	s_waitcnt lgkmcnt(0)
	v_add_f32_e32 v1, v1, v2
	ds_bpermute_b32 v2, v11, v1
	;; [unrolled: 3-line block ×3, first 2 shown]
	v_mov_b32_e32 v1, s8
	v_cndmask_b32_e64 v1, v1, v6, s[4:5]
	v_cndmask_b32_e64 v6, 0, v6, s[4:5]
	s_waitcnt lgkmcnt(0)
	v_add_f32_e32 v3, v2, v3
	ds_bpermute_b32 v5, v5, v3
	v_mov_b32_e32 v2, s8
	v_cndmask_b32_e64 v2, v2, v18, s[2:3]
	s_waitcnt lgkmcnt(0)
	v_add_f32_e32 v5, v3, v5
	v_div_scale_f32 v8, s[12:13], v5, v5, 1.0
	v_rcp_f32_e32 v11, v8
	v_mov_b32_e32 v3, s8
	v_cndmask_b32_e64 v3, v3, v4, s[0:1]
	v_cndmask_b32_e64 v4, 0, v4, s[0:1]
	v_fma_f32 v12, -v8, v11, 1.0
	v_fmac_f32_e32 v11, v12, v11
	v_div_scale_f32 v12, vcc, 1.0, v5, 1.0
	v_mul_f32_e32 v13, v12, v11
	v_fma_f32 v18, -v8, v13, v12
	v_fmac_f32_e32 v13, v18, v11
	v_fma_f32 v8, -v8, v13, v12
	v_div_fmas_f32 v8, v8, v11, v13
	v_div_fixup_f32 v5, v8, v5, 1.0
	v_mul_f32_e32 v6, v6, v5
	v_mul_f32_e32 v8, v0, v5
	v_cndmask_b32_e64 v1, v1, v6, s[4:5]
	v_mul_f32_e32 v6, v7, v5
	v_mul_f32_e32 v4, v4, v5
	v_cndmask_b32_e64 v0, v0, v8, s[6:7]
	v_cndmask_b32_e64 v2, v2, v6, s[2:3]
	;; [unrolled: 1-line block ×3, first 2 shown]
.LBB18_42:
	v_mul_lo_u32 v6, v9, s9
	v_mov_b32_e32 v4, s14
	v_mov_b32_e32 v5, s15
	v_ashrrev_i32_e32 v7, 31, v6
	v_lshl_add_u64 v[4:5], v[6:7], 2, v[4:5]
	v_cmp_gt_i32_e32 vcc, s9, v14
	s_and_saveexec_b64 s[0:1], vcc
	s_cbranch_execnz .LBB18_48
; %bb.43:
	s_or_b64 exec, exec, s[0:1]
	v_cmp_gt_i32_e32 vcc, s9, v17
	s_and_saveexec_b64 s[0:1], vcc
	s_cbranch_execnz .LBB18_49
.LBB18_44:
	s_or_b64 exec, exec, s[0:1]
	v_cmp_gt_i32_e32 vcc, s9, v16
	s_and_saveexec_b64 s[0:1], vcc
	s_cbranch_execnz .LBB18_50
.LBB18_45:
	s_or_b64 exec, exec, s[0:1]
	v_cmp_gt_i32_e32 vcc, s9, v15
	s_and_b64 exec, exec, vcc
	s_cbranch_execz .LBB18_47
.LBB18_46:
	v_mov_b32_e32 v11, 0
	v_lshl_add_u64 v[0:1], v[4:5], 0, v[10:11]
	v_mul_f32_e32 v2, s11, v3
	global_store_dword v[0:1], v2, off offset:384
.LBB18_47:
	s_endpgm
.LBB18_48:
	v_mov_b32_e32 v11, 0
	v_lshl_add_u64 v[6:7], v[4:5], 0, v[10:11]
	v_mul_f32_e32 v0, s11, v0
	global_store_dword v[6:7], v0, off
	s_or_b64 exec, exec, s[0:1]
	v_cmp_gt_i32_e32 vcc, s9, v17
	s_and_saveexec_b64 s[0:1], vcc
	s_cbranch_execz .LBB18_44
.LBB18_49:
	v_mov_b32_e32 v11, 0
	v_lshl_add_u64 v[6:7], v[4:5], 0, v[10:11]
	v_mul_f32_e32 v0, s11, v1
	global_store_dword v[6:7], v0, off offset:128
	s_or_b64 exec, exec, s[0:1]
	v_cmp_gt_i32_e32 vcc, s9, v16
	s_and_saveexec_b64 s[0:1], vcc
	s_cbranch_execz .LBB18_45
.LBB18_50:
	v_mov_b32_e32 v11, 0
	v_lshl_add_u64 v[0:1], v[4:5], 0, v[10:11]
	v_mul_f32_e32 v2, s11, v2
	global_store_dword v[0:1], v2, off offset:256
	s_or_b64 exec, exec, s[0:1]
	v_cmp_gt_i32_e32 vcc, s9, v15
	s_and_b64 exec, exec, vcc
	s_cbranch_execnz .LBB18_46
	s_branch .LBB18_47
	.section	.rodata,"a",@progbits
	.p2align	6, 0x0
	.amdhsa_kernel _Z13topk_moe_cudaILi128ELb0EEvPKfPfPiS2_iiff15topk_moe_config
		.amdhsa_group_segment_fixed_size 0
		.amdhsa_private_segment_fixed_size 0
		.amdhsa_kernarg_size 312
		.amdhsa_user_sgpr_count 2
		.amdhsa_user_sgpr_dispatch_ptr 0
		.amdhsa_user_sgpr_queue_ptr 0
		.amdhsa_user_sgpr_kernarg_segment_ptr 1
		.amdhsa_user_sgpr_dispatch_id 0
		.amdhsa_user_sgpr_kernarg_preload_length 0
		.amdhsa_user_sgpr_kernarg_preload_offset 0
		.amdhsa_user_sgpr_private_segment_size 0
		.amdhsa_uses_dynamic_stack 0
		.amdhsa_enable_private_segment 0
		.amdhsa_system_sgpr_workgroup_id_x 1
		.amdhsa_system_sgpr_workgroup_id_y 0
		.amdhsa_system_sgpr_workgroup_id_z 0
		.amdhsa_system_sgpr_workgroup_info 0
		.amdhsa_system_vgpr_workitem_id 1
		.amdhsa_next_free_vgpr 28
		.amdhsa_next_free_sgpr 16
		.amdhsa_accum_offset 28
		.amdhsa_reserve_vcc 1
		.amdhsa_float_round_mode_32 0
		.amdhsa_float_round_mode_16_64 0
		.amdhsa_float_denorm_mode_32 3
		.amdhsa_float_denorm_mode_16_64 3
		.amdhsa_dx10_clamp 1
		.amdhsa_ieee_mode 1
		.amdhsa_fp16_overflow 0
		.amdhsa_tg_split 0
		.amdhsa_exception_fp_ieee_invalid_op 0
		.amdhsa_exception_fp_denorm_src 0
		.amdhsa_exception_fp_ieee_div_zero 0
		.amdhsa_exception_fp_ieee_overflow 0
		.amdhsa_exception_fp_ieee_underflow 0
		.amdhsa_exception_fp_ieee_inexact 0
		.amdhsa_exception_int_div_zero 0
	.end_amdhsa_kernel
	.section	.text._Z13topk_moe_cudaILi128ELb0EEvPKfPfPiS2_iiff15topk_moe_config,"axG",@progbits,_Z13topk_moe_cudaILi128ELb0EEvPKfPfPiS2_iiff15topk_moe_config,comdat
.Lfunc_end18:
	.size	_Z13topk_moe_cudaILi128ELb0EEvPKfPfPiS2_iiff15topk_moe_config, .Lfunc_end18-_Z13topk_moe_cudaILi128ELb0EEvPKfPfPiS2_iiff15topk_moe_config
                                        ; -- End function
	.set _Z13topk_moe_cudaILi128ELb0EEvPKfPfPiS2_iiff15topk_moe_config.num_vgpr, 28
	.set _Z13topk_moe_cudaILi128ELb0EEvPKfPfPiS2_iiff15topk_moe_config.num_agpr, 0
	.set _Z13topk_moe_cudaILi128ELb0EEvPKfPfPiS2_iiff15topk_moe_config.numbered_sgpr, 16
	.set _Z13topk_moe_cudaILi128ELb0EEvPKfPfPiS2_iiff15topk_moe_config.num_named_barrier, 0
	.set _Z13topk_moe_cudaILi128ELb0EEvPKfPfPiS2_iiff15topk_moe_config.private_seg_size, 0
	.set _Z13topk_moe_cudaILi128ELb0EEvPKfPfPiS2_iiff15topk_moe_config.uses_vcc, 1
	.set _Z13topk_moe_cudaILi128ELb0EEvPKfPfPiS2_iiff15topk_moe_config.uses_flat_scratch, 0
	.set _Z13topk_moe_cudaILi128ELb0EEvPKfPfPiS2_iiff15topk_moe_config.has_dyn_sized_stack, 0
	.set _Z13topk_moe_cudaILi128ELb0EEvPKfPfPiS2_iiff15topk_moe_config.has_recursion, 0
	.set _Z13topk_moe_cudaILi128ELb0EEvPKfPfPiS2_iiff15topk_moe_config.has_indirect_call, 0
	.section	.AMDGPU.csdata,"",@progbits
; Kernel info:
; codeLenInByte = 4328
; TotalNumSgprs: 22
; NumVgprs: 28
; NumAgprs: 0
; TotalNumVgprs: 28
; ScratchSize: 0
; MemoryBound: 0
; FloatMode: 240
; IeeeMode: 1
; LDSByteSize: 0 bytes/workgroup (compile time only)
; SGPRBlocks: 2
; VGPRBlocks: 3
; NumSGPRsForWavesPerEU: 22
; NumVGPRsForWavesPerEU: 28
; AccumOffset: 28
; Occupancy: 8
; WaveLimiterHint : 1
; COMPUTE_PGM_RSRC2:SCRATCH_EN: 0
; COMPUTE_PGM_RSRC2:USER_SGPR: 2
; COMPUTE_PGM_RSRC2:TRAP_HANDLER: 0
; COMPUTE_PGM_RSRC2:TGID_X_EN: 1
; COMPUTE_PGM_RSRC2:TGID_Y_EN: 0
; COMPUTE_PGM_RSRC2:TGID_Z_EN: 0
; COMPUTE_PGM_RSRC2:TIDIG_COMP_CNT: 1
; COMPUTE_PGM_RSRC3_GFX90A:ACCUM_OFFSET: 6
; COMPUTE_PGM_RSRC3_GFX90A:TG_SPLIT: 0
	.section	.text._Z13topk_moe_cudaILi256ELb0EEvPKfPfPiS2_iiff15topk_moe_config,"axG",@progbits,_Z13topk_moe_cudaILi256ELb0EEvPKfPfPiS2_iiff15topk_moe_config,comdat
	.protected	_Z13topk_moe_cudaILi256ELb0EEvPKfPfPiS2_iiff15topk_moe_config ; -- Begin function _Z13topk_moe_cudaILi256ELb0EEvPKfPfPiS2_iiff15topk_moe_config
	.globl	_Z13topk_moe_cudaILi256ELb0EEvPKfPfPiS2_iiff15topk_moe_config
	.p2align	8
	.type	_Z13topk_moe_cudaILi256ELb0EEvPKfPfPiS2_iiff15topk_moe_config,@function
_Z13topk_moe_cudaILi256ELb0EEvPKfPfPiS2_iiff15topk_moe_config: ; @_Z13topk_moe_cudaILi256ELb0EEvPKfPfPiS2_iiff15topk_moe_config
; %bb.0:
	s_load_dword s3, s[0:1], 0x44
	s_load_dwordx4 s[16:19], s[0:1], 0x20
	v_bfe_u32 v1, v0, 10, 10
	s_waitcnt lgkmcnt(0)
	s_lshr_b32 s3, s3, 16
	s_mul_i32 s2, s2, s3
	v_add_u32_e32 v24, s2, v1
	v_cmp_gt_i32_e32 vcc, s16, v24
	s_and_saveexec_b64 s[2:3], vcc
	s_cbranch_execz .LBB19_51
; %bb.1:
	s_load_dwordx4 s[20:23], s[0:1], 0x0
	v_mov_b32_e32 v23, 0
	v_lshlrev_b32_e32 v2, 8, v24
	global_load_ushort v1, v23, s[0:1] offset:48
	v_ashrrev_i32_e32 v3, 31, v2
	s_waitcnt lgkmcnt(0)
	v_mov_b32_e32 v4, s20
	v_mov_b32_e32 v5, s21
	v_and_b32_e32 v25, 0x3ff, v0
	v_lshl_add_u64 v[4:5], v[2:3], 2, v[4:5]
	v_lshlrev_b32_e32 v22, 2, v25
	v_lshl_add_u64 v[4:5], v[4:5], 0, v[22:23]
	global_load_dword v17, v[4:5], off
	global_load_dword v16, v[4:5], off offset:128
	global_load_dword v10, v[4:5], off offset:256
	;; [unrolled: 1-line block ×7, first 2 shown]
	s_load_dwordx2 s[2:3], s[0:1], 0x10
	s_nop 0
	s_load_dword s0, s[0:1], 0x30
	s_waitcnt vmcnt(8)
	v_readfirstlane_b32 s1, v1
	s_and_b32 s4, 0xffff, s1
	s_waitcnt lgkmcnt(0)
	s_bitcmp1_b32 s0, 16
	s_cselect_b64 s[20:21], -1, 0
	s_and_b64 vcc, exec, s[20:21]
	s_cbranch_vccnz .LBB19_7
; %bb.2:
	v_and_b32_e32 v0, 1, v1
	v_cmp_eq_u32_e32 vcc, 0, v0
	s_cbranch_vccz .LBB19_4
; %bb.3:
	v_mbcnt_lo_u32_b32 v1, -1, 0
	v_mbcnt_hi_u32_b32 v1, -1, v1
	s_mov_b32 s0, 0xff800000
	v_and_b32_e32 v4, 0x60, v1
	s_waitcnt vmcnt(6)
	v_max3_f32 v0, v17, s0, v16
	v_add_u32_e32 v4, 32, v4
	v_xor_b32_e32 v5, 16, v1
	s_waitcnt vmcnt(4)
	v_max3_f32 v0, v0, v10, v11
	v_cmp_lt_i32_e32 vcc, v5, v4
	s_waitcnt vmcnt(2)
	v_max3_f32 v0, v0, v12, v13
	s_waitcnt vmcnt(0)
	v_max3_f32 v0, v0, v15, v14
	v_cndmask_b32_e32 v5, v1, v5, vcc
	v_lshlrev_b32_e32 v18, 2, v5
	ds_bpermute_b32 v5, v18, v0
	s_mov_b32 s0, 0x3fb8aa3b
	s_mov_b32 s1, 0xc2ce8ed0
	s_mov_b32 s5, 0x42b17218
	v_mov_b32_e32 v9, 0x7f800000
	s_waitcnt lgkmcnt(0)
	v_max_f32_e32 v5, v5, v5
	v_max_f32_e32 v0, v0, v5
	v_xor_b32_e32 v5, 8, v1
	v_cmp_lt_i32_e32 vcc, v5, v4
	s_nop 1
	v_cndmask_b32_e32 v5, v1, v5, vcc
	v_lshlrev_b32_e32 v19, 2, v5
	ds_bpermute_b32 v5, v19, v0
	s_waitcnt lgkmcnt(0)
	v_max_f32_e32 v5, v5, v5
	v_max_f32_e32 v0, v0, v5
	v_xor_b32_e32 v5, 4, v1
	v_cmp_lt_i32_e32 vcc, v5, v4
	s_nop 1
	v_cndmask_b32_e32 v5, v1, v5, vcc
	v_lshlrev_b32_e32 v20, 2, v5
	ds_bpermute_b32 v5, v20, v0
	;; [unrolled: 9-line block ×4, first 2 shown]
	s_waitcnt lgkmcnt(0)
	v_max_f32_e32 v1, v1, v1
	v_max_f32_e32 v8, v0, v1
	v_sub_f32_e32 v0, v17, v8
	v_mul_f32_e32 v1, 0x3fb8aa3b, v0
	v_fma_f32 v4, v0, s0, -v1
	v_rndne_f32_e32 v5, v1
	v_fmac_f32_e32 v4, 0x32a5705f, v0
	v_sub_f32_e32 v1, v1, v5
	v_add_f32_e32 v1, v1, v4
	v_exp_f32_e32 v1, v1
	v_cvt_i32_f32_e32 v4, v5
	v_cmp_ngt_f32_e32 vcc, s1, v0
	v_ldexp_f32 v1, v1, v4
	v_sub_f32_e32 v4, v16, v8
	v_mul_f32_e32 v5, 0x3fb8aa3b, v4
	v_fma_f32 v6, v4, s0, -v5
	v_rndne_f32_e32 v7, v5
	v_fmac_f32_e32 v6, 0x32a5705f, v4
	v_sub_f32_e32 v5, v5, v7
	v_add_f32_e32 v5, v5, v6
	v_exp_f32_e32 v5, v5
	v_cvt_i32_f32_e32 v6, v7
	v_cndmask_b32_e32 v1, 0, v1, vcc
	v_cmp_nlt_f32_e32 vcc, s5, v0
	s_nop 1
	v_cndmask_b32_e32 v0, v9, v1, vcc
	v_ldexp_f32 v1, v5, v6
	v_sub_f32_e32 v5, v10, v8
	v_mul_f32_e32 v6, 0x3fb8aa3b, v5
	v_fma_f32 v7, v5, s0, -v6
	v_rndne_f32_e32 v26, v6
	v_fmac_f32_e32 v7, 0x32a5705f, v5
	v_sub_f32_e32 v6, v6, v26
	v_add_f32_e32 v6, v6, v7
	v_exp_f32_e32 v6, v6
	v_cvt_i32_f32_e32 v7, v26
	v_cmp_ngt_f32_e32 vcc, s1, v4
	s_nop 1
	v_cndmask_b32_e32 v1, 0, v1, vcc
	v_cmp_nlt_f32_e32 vcc, s5, v4
	v_ldexp_f32 v4, v6, v7
	v_sub_f32_e32 v6, v11, v8
	v_mul_f32_e32 v7, 0x3fb8aa3b, v6
	v_fma_f32 v27, v6, s0, -v7
	v_rndne_f32_e32 v28, v7
	v_fmac_f32_e32 v27, 0x32a5705f, v6
	v_sub_f32_e32 v7, v7, v28
	v_add_f32_e32 v7, v7, v27
	v_exp_f32_e32 v7, v7
	v_cvt_i32_f32_e32 v27, v28
	v_cndmask_b32_e32 v1, v9, v1, vcc
	v_cmp_ngt_f32_e32 vcc, s1, v5
	v_add_f32_e32 v26, v0, v1
	s_nop 0
	v_cndmask_b32_e32 v4, 0, v4, vcc
	v_cmp_nlt_f32_e32 vcc, s5, v5
	v_ldexp_f32 v5, v7, v27
	v_sub_f32_e32 v7, v12, v8
	v_mul_f32_e32 v27, 0x3fb8aa3b, v7
	v_fma_f32 v28, v7, s0, -v27
	v_rndne_f32_e32 v29, v27
	v_fmac_f32_e32 v28, 0x32a5705f, v7
	v_sub_f32_e32 v27, v27, v29
	v_add_f32_e32 v27, v27, v28
	v_exp_f32_e32 v27, v27
	v_cvt_i32_f32_e32 v28, v29
	v_cndmask_b32_e32 v4, v9, v4, vcc
	v_cmp_ngt_f32_e32 vcc, s1, v6
	v_add_f32_e32 v26, v4, v26
	;; [unrolled: 16-line block ×5, first 2 shown]
	s_nop 0
	v_cndmask_b32_e32 v27, 0, v27, vcc
	v_cmp_nlt_f32_e32 vcc, s5, v28
	s_nop 1
	v_cndmask_b32_e32 v8, v9, v27, vcc
	v_ldexp_f32 v27, v30, v31
	v_cmp_ngt_f32_e32 vcc, s1, v29
	v_add_f32_e32 v26, v8, v26
	s_nop 0
	v_cndmask_b32_e32 v27, 0, v27, vcc
	v_cmp_nlt_f32_e32 vcc, s5, v29
	s_nop 1
	v_cndmask_b32_e32 v9, v9, v27, vcc
	v_add_f32_e32 v26, v9, v26
	ds_bpermute_b32 v18, v18, v26
	s_waitcnt lgkmcnt(0)
	v_add_f32_e32 v18, v26, v18
	ds_bpermute_b32 v19, v19, v18
	s_waitcnt lgkmcnt(0)
	;; [unrolled: 3-line block ×5, first 2 shown]
	v_add_f32_e32 v18, v18, v19
	v_div_scale_f32 v19, s[0:1], v18, v18, 1.0
	v_rcp_f32_e32 v20, v19
	s_nop 0
	v_fma_f32 v21, -v19, v20, 1.0
	v_fmac_f32_e32 v20, v21, v20
	v_div_scale_f32 v21, vcc, 1.0, v18, 1.0
	v_mul_f32_e32 v23, v21, v20
	v_fma_f32 v26, -v19, v23, v21
	v_fmac_f32_e32 v23, v26, v20
	v_fma_f32 v19, -v19, v23, v21
	v_div_fmas_f32 v19, v19, v20, v23
	v_div_fixup_f32 v18, v19, v18, 1.0
	v_pk_mul_f32 v[8:9], v[8:9], v[18:19] op_sel_hi:[1,0]
	v_pk_mul_f32 v[6:7], v[6:7], v[18:19] op_sel_hi:[1,0]
	;; [unrolled: 1-line block ×4, first 2 shown]
	s_cbranch_execz .LBB19_5
	s_branch .LBB19_6
.LBB19_4:
                                        ; implicit-def: $vgpr9
                                        ; implicit-def: $vgpr7
                                        ; implicit-def: $vgpr5
                                        ; implicit-def: $vgpr1
.LBB19_5:
	s_waitcnt vmcnt(7)
	v_mul_f32_e32 v0, 0xbfb8aa3b, v17
	s_mov_b32 s0, 0xbfb8aa3b
	v_rndne_f32_e32 v1, v0
	v_sub_f32_e32 v4, v0, v1
	v_fma_f32 v0, v17, s0, -v0
	v_fmac_f32_e32 v0, 0xb2a5705f, v17
	v_add_f32_e32 v0, v4, v0
	v_exp_f32_e32 v0, v0
	v_cvt_i32_f32_e32 v1, v1
	s_mov_b32 s1, 0x42ce8ed0
	v_cmp_nlt_f32_e32 vcc, s1, v17
	s_mov_b32 s5, 0xc2b17218
	v_ldexp_f32 v0, v0, v1
	s_waitcnt vmcnt(6)
	v_mul_f32_e32 v1, 0xbfb8aa3b, v16
	v_rndne_f32_e32 v4, v1
	v_sub_f32_e32 v5, v1, v4
	v_fma_f32 v1, v16, s0, -v1
	v_fmac_f32_e32 v1, 0xb2a5705f, v16
	v_add_f32_e32 v1, v5, v1
	v_exp_f32_e32 v1, v1
	v_cvt_i32_f32_e32 v4, v4
	v_cndmask_b32_e32 v0, 0, v0, vcc
	v_mov_b32_e32 v9, 0x7f800000
	v_cmp_ngt_f32_e32 vcc, s5, v17
	v_ldexp_f32 v1, v1, v4
	s_waitcnt vmcnt(5)
	v_mul_f32_e32 v4, 0xbfb8aa3b, v10
	v_rndne_f32_e32 v5, v4
	v_sub_f32_e32 v6, v4, v5
	v_fma_f32 v4, v10, s0, -v4
	v_fmac_f32_e32 v4, 0xb2a5705f, v10
	v_add_f32_e32 v4, v6, v4
	v_exp_f32_e32 v4, v4
	v_cvt_i32_f32_e32 v5, v5
	v_cndmask_b32_e32 v0, v9, v0, vcc
	v_cmp_nlt_f32_e32 vcc, s1, v16
	v_ldexp_f32 v4, v4, v5
	s_waitcnt vmcnt(4)
	v_mul_f32_e32 v5, 0xbfb8aa3b, v11
	v_rndne_f32_e32 v6, v5
	v_sub_f32_e32 v7, v5, v6
	v_fma_f32 v5, v11, s0, -v5
	v_fmac_f32_e32 v5, 0xb2a5705f, v11
	v_add_f32_e32 v5, v7, v5
	v_exp_f32_e32 v5, v5
	v_cvt_i32_f32_e32 v6, v6
	v_cndmask_b32_e32 v1, 0, v1, vcc
	v_cmp_ngt_f32_e32 vcc, s5, v16
	v_ldexp_f32 v5, v5, v6
	s_waitcnt vmcnt(3)
	v_mul_f32_e32 v6, 0xbfb8aa3b, v12
	v_rndne_f32_e32 v7, v6
	v_sub_f32_e32 v8, v6, v7
	v_fma_f32 v6, v12, s0, -v6
	v_fmac_f32_e32 v6, 0xb2a5705f, v12
	v_add_f32_e32 v6, v8, v6
	v_exp_f32_e32 v6, v6
	v_cvt_i32_f32_e32 v7, v7
	v_cndmask_b32_e32 v1, v9, v1, vcc
	v_cmp_nlt_f32_e32 vcc, s1, v10
	v_pk_add_f32 v[0:1], v[0:1], 1.0 op_sel_hi:[1,0]
	v_ldexp_f32 v6, v6, v7
	s_waitcnt vmcnt(2)
	v_mul_f32_e32 v7, 0xbfb8aa3b, v13
	v_rndne_f32_e32 v8, v7
	v_cndmask_b32_e32 v4, 0, v4, vcc
	v_cmp_ngt_f32_e32 vcc, s5, v10
	v_sub_f32_e32 v10, v7, v8
	v_fma_f32 v7, v13, s0, -v7
	v_fmac_f32_e32 v7, 0xb2a5705f, v13
	v_add_f32_e32 v7, v10, v7
	v_exp_f32_e32 v7, v7
	v_cvt_i32_f32_e32 v8, v8
	v_cndmask_b32_e32 v4, v9, v4, vcc
	v_cmp_nlt_f32_e32 vcc, s1, v11
	v_ldexp_f32 v7, v7, v8
	s_waitcnt vmcnt(1)
	v_mul_f32_e32 v8, 0xbfb8aa3b, v15
	v_rndne_f32_e32 v10, v8
	v_cndmask_b32_e32 v5, 0, v5, vcc
	v_cmp_ngt_f32_e32 vcc, s5, v11
	v_sub_f32_e32 v11, v8, v10
	v_fma_f32 v8, v15, s0, -v8
	v_fmac_f32_e32 v8, 0xb2a5705f, v15
	v_add_f32_e32 v8, v11, v8
	v_exp_f32_e32 v8, v8
	v_cvt_i32_f32_e32 v10, v10
	v_cndmask_b32_e32 v5, v9, v5, vcc
	v_cmp_nlt_f32_e32 vcc, s1, v12
	v_pk_add_f32 v[4:5], v[4:5], 1.0 op_sel_hi:[1,0]
	v_ldexp_f32 v8, v8, v10
	s_waitcnt vmcnt(0)
	v_mul_f32_e32 v10, 0xbfb8aa3b, v14
	v_rndne_f32_e32 v11, v10
	v_cndmask_b32_e32 v6, 0, v6, vcc
	v_cmp_ngt_f32_e32 vcc, s5, v12
	v_sub_f32_e32 v12, v10, v11
	v_fma_f32 v10, v14, s0, -v10
	v_fmac_f32_e32 v10, 0xb2a5705f, v14
	v_add_f32_e32 v10, v12, v10
	v_cndmask_b32_e32 v6, v9, v6, vcc
	v_cmp_nlt_f32_e32 vcc, s1, v13
	v_exp_f32_e32 v10, v10
	v_cvt_i32_f32_e32 v11, v11
	v_cndmask_b32_e32 v7, 0, v7, vcc
	v_cmp_ngt_f32_e32 vcc, s5, v13
	v_ldexp_f32 v10, v10, v11
	s_nop 0
	v_cndmask_b32_e32 v7, v9, v7, vcc
	v_cmp_nlt_f32_e32 vcc, s1, v15
	v_pk_add_f32 v[6:7], v[6:7], 1.0 op_sel_hi:[1,0]
	s_nop 0
	v_cndmask_b32_e32 v8, 0, v8, vcc
	v_cmp_ngt_f32_e32 vcc, s5, v15
	s_nop 1
	v_cndmask_b32_e32 v8, v9, v8, vcc
	v_cmp_nlt_f32_e32 vcc, s1, v14
	s_nop 1
	v_cndmask_b32_e32 v10, 0, v10, vcc
	v_cmp_ngt_f32_e32 vcc, s5, v14
	s_nop 1
	v_cndmask_b32_e32 v9, v9, v10, vcc
	v_div_scale_f32 v10, s[0:1], v0, v0, 1.0
	v_rcp_f32_e32 v11, v10
	v_pk_add_f32 v[8:9], v[8:9], 1.0 op_sel_hi:[1,0]
	v_fma_f32 v12, -v10, v11, 1.0
	v_fmac_f32_e32 v11, v12, v11
	v_div_scale_f32 v12, vcc, 1.0, v0, 1.0
	v_mul_f32_e32 v13, v12, v11
	v_fma_f32 v14, -v10, v13, v12
	v_fmac_f32_e32 v13, v14, v11
	v_fma_f32 v10, -v10, v13, v12
	v_div_scale_f32 v12, s[0:1], v1, v1, 1.0
	v_rcp_f32_e32 v14, v12
	v_div_fmas_f32 v10, v10, v11, v13
	v_div_fixup_f32 v0, v10, v0, 1.0
	v_fma_f32 v10, -v12, v14, 1.0
	v_fmac_f32_e32 v14, v10, v14
	v_div_scale_f32 v10, vcc, 1.0, v1, 1.0
	v_mul_f32_e32 v11, v10, v14
	v_fma_f32 v13, -v12, v11, v10
	v_fmac_f32_e32 v11, v13, v14
	v_fma_f32 v10, -v12, v11, v10
	v_div_scale_f32 v12, s[0:1], v4, v4, 1.0
	v_rcp_f32_e32 v13, v12
	v_div_fmas_f32 v10, v10, v14, v11
	v_div_fixup_f32 v1, v10, v1, 1.0
	;; [unrolled: 11-line block ×7, first 2 shown]
	v_fma_f32 v10, -v12, v14, 1.0
	v_fmac_f32_e32 v14, v10, v14
	v_div_scale_f32 v10, vcc, 1.0, v9, 1.0
	v_mul_f32_e32 v11, v10, v14
	v_fma_f32 v13, -v12, v11, v10
	v_fmac_f32_e32 v11, v13, v14
	v_fma_f32 v10, -v12, v11, v10
	v_div_fmas_f32 v10, v10, v14, v11
	v_div_fixup_f32 v9, v10, v9, 1.0
.LBB19_6:
	s_waitcnt vmcnt(7)
	v_mov_b32_e32 v17, v0
	s_waitcnt vmcnt(6)
	v_mov_b32_e32 v16, v1
	;; [unrolled: 2-line block ×8, first 2 shown]
.LBB19_7:
	s_lshr_b32 s4, s4, 8
	s_cmp_gt_i32 s17, 0
	s_cbranch_scc1 .LBB19_9
; %bb.8:
	s_bitcmp1_b32 s4, 0
	s_mov_b64 s[0:1], 0
	s_cselect_b64 s[24:25], -1, 0
	s_branch .LBB19_10
.LBB19_9:
	s_mov_b64 s[0:1], -1
                                        ; implicit-def: $sgpr24_sgpr25
.LBB19_10:
	v_add_u32_e32 v32, 32, v25
	v_add_u32_e32 v31, 64, v25
	;; [unrolled: 1-line block ×7, first 2 shown]
	s_mov_b32 s16, 0
	s_andn2_b64 vcc, exec, s[0:1]
	v_mbcnt_lo_u32_b32 v23, -1, 0
	s_cbranch_vccnz .LBB19_37
; %bb.11:
	v_mov_b32_e32 v0, s2
	v_mov_b32_e32 v1, s3
	v_lshl_add_u64 v[18:19], v[2:3], 2, v[0:1]
	v_mbcnt_hi_u32_b32 v0, -1, v23
	v_and_b32_e32 v1, 0x60, v0
	v_add_u32_e32 v1, 32, v1
	v_xor_b32_e32 v2, 16, v0
	s_bitcmp1_b32 s4, 0
	v_cmp_lt_i32_e64 s[4:5], v2, v1
	v_mov_b32_e32 v36, 0xff7fffff
	s_waitcnt vmcnt(7)
	v_cmp_o_f32_e32 vcc, v17, v17
	v_cndmask_b32_e64 v2, v0, v2, s[4:5]
	s_waitcnt vmcnt(1)
	v_cmp_o_f32_e64 s[0:1], v15, v15
	v_cndmask_b32_e32 v8, v36, v17, vcc
	v_lshlrev_b32_e32 v17, 2, v2
	v_xor_b32_e32 v2, 8, v0
	v_cmp_lt_i32_e64 s[4:5], v2, v1
	v_cmp_o_f32_e32 vcc, v16, v16
	s_waitcnt vmcnt(0)
	v_cmp_o_f32_e64 s[2:3], v14, v14
	v_cndmask_b32_e64 v2, v0, v2, s[4:5]
	v_lshlrev_b32_e32 v20, 2, v2
	v_xor_b32_e32 v2, 4, v0
	v_cmp_lt_i32_e64 s[4:5], v2, v1
	v_cndmask_b32_e32 v9, v36, v16, vcc
	v_cmp_o_f32_e32 vcc, v10, v10
	v_cndmask_b32_e64 v2, v0, v2, s[4:5]
	v_lshlrev_b32_e32 v21, 2, v2
	v_xor_b32_e32 v2, 2, v0
	v_cmp_lt_i32_e64 s[4:5], v2, v1
	v_cndmask_b32_e32 v10, v36, v10, vcc
	v_cmp_o_f32_e32 vcc, v11, v11
	v_cndmask_b32_e64 v2, v0, v2, s[4:5]
	v_lshlrev_b32_e32 v33, 2, v2
	v_xor_b32_e32 v2, 1, v0
	v_cndmask_b32_e32 v11, v36, v11, vcc
	v_cmp_o_f32_e32 vcc, v12, v12
	v_cmp_lt_i32_e64 s[4:5], v2, v1
	s_cselect_b64 s[24:25], -1, 0
	v_cndmask_b32_e32 v12, v36, v12, vcc
	v_cmp_o_f32_e32 vcc, v13, v13
	v_cndmask_b32_e64 v0, v0, v2, s[4:5]
	v_lshlrev_b32_e32 v34, 2, v0
	v_mov_b32_e32 v0, 0
	v_mov_b32_e32 v1, 0
	;; [unrolled: 1-line block ×9, first 2 shown]
	v_cndmask_b32_e32 v13, v36, v13, vcc
	v_cndmask_b32_e64 v16, v36, v15, s[0:1]
	v_cndmask_b32_e64 v15, v36, v14, s[2:3]
	v_mov_b32_e32 v14, 0
	s_branch .LBB19_13
.LBB19_12:                              ;   in Loop: Header=BB19_13 Depth=1
	s_or_b64 exec, exec, s[0:1]
	s_and_b32 s0, s16, 31
	v_cmp_eq_u32_e32 vcc, s0, v25
	s_lshr_b32 s0, s16, 5
	s_cmp_eq_u32 s0, 0
	s_cselect_b64 s[2:3], -1, 0
	s_cmp_eq_u32 s0, 1
	s_cselect_b64 s[4:5], -1, 0
	;; [unrolled: 2-line block ×8, first 2 shown]
	s_and_b64 s[0:1], vcc, s[0:1]
	v_cndmask_b32_e64 v7, v7, v36, s[0:1]
	s_and_b64 s[0:1], vcc, s[14:15]
	v_cndmask_b32_e64 v6, v6, v36, s[0:1]
	;; [unrolled: 2-line block ×6, first 2 shown]
	s_and_b64 s[0:1], vcc, s[4:5]
	s_and_b64 vcc, vcc, s[2:3]
	s_add_i32 s16, s16, 1
	v_cndmask_b32_e64 v1, v1, v36, s[0:1]
	v_cndmask_b32_e32 v0, v0, v36, vcc
	s_cmp_eq_u32 s17, s16
	v_lshl_add_u64 v[18:19], v[18:19], 0, 4
	s_cbranch_scc1 .LBB19_38
.LBB19_13:                              ; =>This Inner Loop Header: Depth=1
	v_cmp_gt_f32_e32 vcc, v9, v8
	s_nop 1
	v_cndmask_b32_e32 v36, v8, v9, vcc
	v_cmp_gt_f32_e64 s[0:1], v10, v36
	v_cndmask_b32_e32 v37, v25, v32, vcc
	s_nop 0
	v_cndmask_b32_e64 v36, v36, v10, s[0:1]
	v_cmp_gt_f32_e32 vcc, v11, v36
	v_cndmask_b32_e64 v37, v37, v31, s[0:1]
	s_nop 0
	v_cndmask_b32_e32 v36, v36, v11, vcc
	v_cndmask_b32_e32 v37, v37, v30, vcc
	v_cmp_gt_f32_e32 vcc, v12, v36
	s_nop 1
	v_cndmask_b32_e32 v36, v36, v12, vcc
	v_cndmask_b32_e32 v37, v37, v29, vcc
	v_cmp_gt_f32_e32 vcc, v13, v36
	;; [unrolled: 4-line block ×4, first 2 shown]
	s_nop 1
	v_cndmask_b32_e32 v36, v36, v15, vcc
	v_cndmask_b32_e32 v37, v37, v26, vcc
	ds_bpermute_b32 v38, v17, v36
	s_waitcnt lgkmcnt(1)
	ds_bpermute_b32 v39, v17, v37
	s_waitcnt lgkmcnt(1)
	v_cmp_lt_f32_e64 s[2:3], v36, v38
	v_cmp_nlt_f32_e32 vcc, v36, v38
	s_and_saveexec_b64 s[4:5], vcc
	s_cbranch_execz .LBB19_15
; %bb.14:                               ;   in Loop: Header=BB19_13 Depth=1
	v_cmp_eq_f32_e32 vcc, v36, v38
	s_waitcnt lgkmcnt(0)
	v_cmp_lt_i32_e64 s[0:1], v39, v37
	s_and_b64 s[0:1], vcc, s[0:1]
	s_andn2_b64 s[2:3], s[2:3], exec
	s_and_b64 s[0:1], s[0:1], exec
	s_or_b64 s[2:3], s[2:3], s[0:1]
.LBB19_15:                              ;   in Loop: Header=BB19_13 Depth=1
	s_or_b64 exec, exec, s[4:5]
	s_and_saveexec_b64 s[0:1], s[2:3]
	s_cbranch_execz .LBB19_17
; %bb.16:                               ;   in Loop: Header=BB19_13 Depth=1
	v_mov_b32_e32 v36, v38
	s_waitcnt lgkmcnt(0)
	v_mov_b32_e32 v37, v39
.LBB19_17:                              ;   in Loop: Header=BB19_13 Depth=1
	s_or_b64 exec, exec, s[0:1]
	s_waitcnt lgkmcnt(0)
	ds_bpermute_b32 v39, v20, v36
	ds_bpermute_b32 v38, v20, v37
	s_waitcnt lgkmcnt(1)
	v_cmp_lt_f32_e64 s[2:3], v36, v39
	v_cmp_nlt_f32_e32 vcc, v36, v39
	s_and_saveexec_b64 s[4:5], vcc
	s_cbranch_execz .LBB19_19
; %bb.18:                               ;   in Loop: Header=BB19_13 Depth=1
	v_cmp_eq_f32_e32 vcc, v36, v39
	s_waitcnt lgkmcnt(0)
	v_cmp_lt_i32_e64 s[0:1], v38, v37
	s_and_b64 s[0:1], vcc, s[0:1]
	s_andn2_b64 s[2:3], s[2:3], exec
	s_and_b64 s[0:1], s[0:1], exec
	s_or_b64 s[2:3], s[2:3], s[0:1]
.LBB19_19:                              ;   in Loop: Header=BB19_13 Depth=1
	s_or_b64 exec, exec, s[4:5]
	s_and_saveexec_b64 s[0:1], s[2:3]
	s_cbranch_execz .LBB19_21
; %bb.20:                               ;   in Loop: Header=BB19_13 Depth=1
	v_mov_b32_e32 v36, v39
	s_waitcnt lgkmcnt(0)
	v_mov_b32_e32 v37, v38
.LBB19_21:                              ;   in Loop: Header=BB19_13 Depth=1
	s_or_b64 exec, exec, s[0:1]
	ds_bpermute_b32 v39, v21, v36
	s_waitcnt lgkmcnt(1)
	ds_bpermute_b32 v38, v21, v37
	s_waitcnt lgkmcnt(1)
	v_cmp_lt_f32_e64 s[2:3], v36, v39
	v_cmp_nlt_f32_e32 vcc, v36, v39
	s_and_saveexec_b64 s[4:5], vcc
	s_cbranch_execz .LBB19_23
; %bb.22:                               ;   in Loop: Header=BB19_13 Depth=1
	v_cmp_eq_f32_e32 vcc, v36, v39
	s_waitcnt lgkmcnt(0)
	v_cmp_lt_i32_e64 s[0:1], v38, v37
	s_and_b64 s[0:1], vcc, s[0:1]
	s_andn2_b64 s[2:3], s[2:3], exec
	s_and_b64 s[0:1], s[0:1], exec
	s_or_b64 s[2:3], s[2:3], s[0:1]
.LBB19_23:                              ;   in Loop: Header=BB19_13 Depth=1
	s_or_b64 exec, exec, s[4:5]
	s_and_saveexec_b64 s[0:1], s[2:3]
	s_cbranch_execz .LBB19_25
; %bb.24:                               ;   in Loop: Header=BB19_13 Depth=1
	v_mov_b32_e32 v36, v39
	s_waitcnt lgkmcnt(0)
	v_mov_b32_e32 v37, v38
.LBB19_25:                              ;   in Loop: Header=BB19_13 Depth=1
	s_or_b64 exec, exec, s[0:1]
	ds_bpermute_b32 v39, v33, v36
	s_waitcnt lgkmcnt(1)
	ds_bpermute_b32 v38, v33, v37
	s_waitcnt lgkmcnt(1)
	v_cmp_lt_f32_e64 s[2:3], v36, v39
	v_cmp_nlt_f32_e32 vcc, v36, v39
	s_and_saveexec_b64 s[4:5], vcc
	s_cbranch_execz .LBB19_27
; %bb.26:                               ;   in Loop: Header=BB19_13 Depth=1
	v_cmp_eq_f32_e32 vcc, v36, v39
	s_waitcnt lgkmcnt(0)
	v_cmp_lt_i32_e64 s[0:1], v38, v37
	s_and_b64 s[0:1], vcc, s[0:1]
	s_andn2_b64 s[2:3], s[2:3], exec
	s_and_b64 s[0:1], s[0:1], exec
	s_or_b64 s[2:3], s[2:3], s[0:1]
.LBB19_27:                              ;   in Loop: Header=BB19_13 Depth=1
	s_or_b64 exec, exec, s[4:5]
	s_and_saveexec_b64 s[0:1], s[2:3]
	s_cbranch_execz .LBB19_29
; %bb.28:                               ;   in Loop: Header=BB19_13 Depth=1
	v_mov_b32_e32 v36, v39
	s_waitcnt lgkmcnt(0)
	v_mov_b32_e32 v37, v38
.LBB19_29:                              ;   in Loop: Header=BB19_13 Depth=1
	s_or_b64 exec, exec, s[0:1]
	s_waitcnt lgkmcnt(0)
	ds_bpermute_b32 v38, v34, v36
	ds_bpermute_b32 v39, v34, v37
	s_waitcnt lgkmcnt(1)
	v_cmp_lt_f32_e64 s[2:3], v36, v38
	v_cmp_nlt_f32_e32 vcc, v36, v38
	s_and_saveexec_b64 s[4:5], vcc
	s_cbranch_execz .LBB19_31
; %bb.30:                               ;   in Loop: Header=BB19_13 Depth=1
	v_cmp_eq_f32_e32 vcc, v36, v38
	s_waitcnt lgkmcnt(0)
	v_cmp_lt_i32_e64 s[0:1], v39, v37
	s_and_b64 s[0:1], vcc, s[0:1]
	s_andn2_b64 s[2:3], s[2:3], exec
	s_and_b64 s[0:1], s[0:1], exec
	s_or_b64 s[2:3], s[2:3], s[0:1]
.LBB19_31:                              ;   in Loop: Header=BB19_13 Depth=1
	s_or_b64 exec, exec, s[4:5]
	s_and_saveexec_b64 s[0:1], s[2:3]
	s_cbranch_execz .LBB19_33
; %bb.32:                               ;   in Loop: Header=BB19_13 Depth=1
	v_mov_b32_e32 v36, v38
	s_waitcnt lgkmcnt(0)
	v_mov_b32_e32 v37, v39
.LBB19_33:                              ;   in Loop: Header=BB19_13 Depth=1
	s_or_b64 exec, exec, s[0:1]
	v_and_b32_e32 v38, 31, v37
	v_cmp_eq_u32_e32 vcc, v38, v25
	s_and_saveexec_b64 s[26:27], vcc
	s_cbranch_execz .LBB19_35
; %bb.34:                               ;   in Loop: Header=BB19_13 Depth=1
	v_ashrrev_i32_e32 v38, 31, v37
	v_lshrrev_b32_e32 v38, 27, v38
	v_add_u32_e32 v38, v37, v38
	v_ashrrev_i32_e32 v38, 5, v38
	v_cmp_ne_u32_e64 s[0:1], 6, v38
	v_cmp_ne_u32_e64 s[2:3], 5, v38
	;; [unrolled: 1-line block ×8, first 2 shown]
	v_cndmask_b32_e64 v16, v35, v16, s[0:1]
	v_cndmask_b32_e64 v13, v35, v13, s[2:3]
	;; [unrolled: 1-line block ×8, first 2 shown]
.LBB19_35:                              ;   in Loop: Header=BB19_13 Depth=1
	s_or_b64 exec, exec, s[26:27]
	s_and_saveexec_b64 s[0:1], vcc
	s_cbranch_execz .LBB19_12
; %bb.36:                               ;   in Loop: Header=BB19_13 Depth=1
	v_add_f32_e32 v38, v14, v36
	v_cndmask_b32_e64 v14, v14, v38, s[24:25]
	global_store_dword v[18:19], v37, off
	s_branch .LBB19_12
.LBB19_37:
	s_waitcnt vmcnt(0)
	v_mov_b32_e32 v14, 0
	v_mov_b32_e32 v15, v14
	v_mov_b32_e32 v16, v14
	v_mov_b32_e32 v17, v14
	v_mov_b32_e32 v18, v14
	v_mov_b32_e32 v19, v14
	v_mov_b32_e32 v20, v14
	v_mov_b32_e32 v21, v14
	v_mov_b64_e32 v[0:1], v[14:15]
	v_mov_b64_e32 v[2:3], v[16:17]
	;; [unrolled: 1-line block ×4, first 2 shown]
.LBB19_38:
	s_and_b64 vcc, exec, s[24:25]
	s_cbranch_vccz .LBB19_40
; %bb.39:
	v_mbcnt_hi_u32_b32 v8, -1, v23
	v_and_b32_e32 v9, 0x60, v8
	v_add_u32_e32 v9, 32, v9
	v_xor_b32_e32 v10, 16, v8
	v_cmp_lt_i32_e32 vcc, v10, v9
	v_xor_b32_e32 v11, 8, v8
	v_xor_b32_e32 v12, 4, v8
	v_cndmask_b32_e32 v10, v8, v10, vcc
	v_lshlrev_b32_e32 v10, 2, v10
	ds_bpermute_b32 v10, v10, v14
	v_cmp_lt_i32_e32 vcc, v11, v9
	s_waitcnt lgkmcnt(0)
	v_add_f32_e32 v10, v14, v10
	v_cndmask_b32_e32 v11, v8, v11, vcc
	v_lshlrev_b32_e32 v11, 2, v11
	ds_bpermute_b32 v11, v11, v10
	v_cmp_lt_i32_e32 vcc, v12, v9
	s_waitcnt lgkmcnt(0)
	v_add_f32_e32 v10, v10, v11
	v_cndmask_b32_e32 v11, v8, v12, vcc
	v_lshlrev_b32_e32 v11, 2, v11
	ds_bpermute_b32 v11, v11, v10
	v_xor_b32_e32 v12, 2, v8
	v_cmp_lt_i32_e32 vcc, v12, v9
	s_waitcnt lgkmcnt(0)
	v_add_f32_e32 v10, v10, v11
	v_cndmask_b32_e32 v11, v8, v12, vcc
	v_lshlrev_b32_e32 v11, 2, v11
	ds_bpermute_b32 v11, v11, v10
	v_xor_b32_e32 v12, 1, v8
	v_cmp_lt_i32_e32 vcc, v12, v9
	v_max_f32_e64 v9, s18, s18
	s_waitcnt lgkmcnt(0)
	v_add_f32_e32 v10, v10, v11
	v_cndmask_b32_e32 v8, v8, v12, vcc
	v_lshlrev_b32_e32 v8, 2, v8
	ds_bpermute_b32 v8, v8, v10
	s_waitcnt lgkmcnt(0)
	v_add_f32_e32 v8, v10, v8
	v_max_f32_e32 v8, v8, v9
	v_div_scale_f32 v9, s[0:1], v8, v8, 1.0
	v_rcp_f32_e32 v10, v9
	v_div_scale_f32 v11, vcc, 1.0, v8, 1.0
	v_fma_f32 v12, -v9, v10, 1.0
	v_fmac_f32_e32 v10, v12, v10
	v_mul_f32_e32 v12, v11, v10
	v_fma_f32 v13, -v9, v12, v11
	v_fmac_f32_e32 v12, v13, v10
	v_fma_f32 v9, -v9, v12, v11
	v_div_fmas_f32 v9, v9, v10, v12
	v_div_fixup_f32 v8, v9, v8, 1.0
	v_pk_mul_f32 v[6:7], v[8:9], v[6:7] op_sel_hi:[0,1]
	v_pk_mul_f32 v[4:5], v[8:9], v[4:5] op_sel_hi:[0,1]
	;; [unrolled: 1-line block ×4, first 2 shown]
.LBB19_40:
	s_andn2_b64 vcc, exec, s[20:21]
	v_cmp_gt_i32_e64 s[12:13], s17, v32
	v_cmp_gt_i32_e64 s[10:11], s17, v31
	v_cmp_gt_i32_e64 s[8:9], s17, v30
	v_cmp_gt_i32_e64 s[6:7], s17, v29
	v_cmp_gt_i32_e64 s[4:5], s17, v28
	v_cmp_gt_i32_e64 s[2:3], s17, v27
	v_cmp_gt_i32_e64 s[0:1], s17, v26
	v_cmp_gt_i32_e64 s[14:15], s17, v25
	s_cbranch_vccnz .LBB19_42
; %bb.41:
	v_max_f32_e32 v8, v0, v0
	v_max_f32_e32 v8, 0xff800000, v8
	v_mov_b32_e32 v9, 0xff800000
	v_cndmask_b32_e64 v8, v9, v8, s[14:15]
	v_max_f32_e32 v9, v1, v1
	v_max_f32_e32 v9, v8, v9
	v_cndmask_b32_e64 v8, v8, v9, s[12:13]
	v_max_f32_e32 v9, v2, v2
	v_max_f32_e32 v9, v8, v9
	;; [unrolled: 3-line block ×5, first 2 shown]
	v_max_f32_e32 v9, v9, v10
	v_cndmask_b32_e64 v8, v8, v9, s[4:5]
	v_max_f32_e32 v9, v8, v8
	v_max_f32_e32 v10, v6, v6
	;; [unrolled: 1-line block ×3, first 2 shown]
	v_cndmask_b32_e64 v8, v8, v9, s[2:3]
	v_max_f32_e32 v9, v8, v8
	v_max_f32_e32 v10, v7, v7
	;; [unrolled: 1-line block ×3, first 2 shown]
	v_cndmask_b32_e64 v8, v8, v9, s[0:1]
	v_mbcnt_hi_u32_b32 v9, -1, v23
	v_and_b32_e32 v10, 0x60, v9
	v_add_u32_e32 v10, 32, v10
	v_xor_b32_e32 v11, 16, v9
	v_cmp_lt_i32_e32 vcc, v11, v10
	s_mov_b32 s16, 0x3fb8aa3b
	s_mov_b32 s18, 0xc2ce8ed0
	v_cndmask_b32_e32 v11, v9, v11, vcc
	v_lshlrev_b32_e32 v11, 2, v11
	ds_bpermute_b32 v12, v11, v8
	v_max_f32_e32 v8, v8, v8
	s_mov_b32 s20, 0x42b17218
	s_waitcnt lgkmcnt(0)
	v_max_f32_e32 v12, v12, v12
	v_max_f32_e32 v8, v8, v12
	v_xor_b32_e32 v12, 8, v9
	v_cmp_lt_i32_e32 vcc, v12, v10
	s_nop 1
	v_cndmask_b32_e32 v12, v9, v12, vcc
	v_lshlrev_b32_e32 v12, 2, v12
	ds_bpermute_b32 v13, v12, v8
	s_waitcnt lgkmcnt(0)
	v_max_f32_e32 v13, v13, v13
	v_max_f32_e32 v8, v8, v13
	v_xor_b32_e32 v13, 4, v9
	v_cmp_lt_i32_e32 vcc, v13, v10
	s_nop 1
	v_cndmask_b32_e32 v13, v9, v13, vcc
	v_lshlrev_b32_e32 v13, 2, v13
	ds_bpermute_b32 v14, v13, v8
	;; [unrolled: 9-line block ×4, first 2 shown]
	s_waitcnt lgkmcnt(0)
	v_max_f32_e32 v10, v10, v10
	v_max_f32_e32 v8, v8, v10
	v_sub_f32_e32 v0, v0, v8
	v_mul_f32_e32 v10, 0x3fb8aa3b, v0
	v_fma_f32 v15, v0, s16, -v10
	v_rndne_f32_e32 v16, v10
	v_fmac_f32_e32 v15, 0x32a5705f, v0
	v_sub_f32_e32 v10, v10, v16
	v_sub_f32_e32 v1, v1, v8
	v_add_f32_e32 v10, v10, v15
	v_cvt_i32_f32_e32 v15, v16
	v_mul_f32_e32 v16, 0x3fb8aa3b, v1
	v_fma_f32 v17, v1, s16, -v16
	v_rndne_f32_e32 v18, v16
	v_exp_f32_e32 v10, v10
	v_fmac_f32_e32 v17, 0x32a5705f, v1
	v_sub_f32_e32 v16, v16, v18
	v_add_f32_e32 v16, v16, v17
	v_exp_f32_e32 v16, v16
	v_cvt_i32_f32_e32 v17, v18
	v_ldexp_f32 v10, v10, v15
	v_cmp_ngt_f32_e32 vcc, s18, v0
	v_mov_b32_e32 v15, 0x7f800000
	v_sub_f32_e32 v2, v2, v8
	v_cndmask_b32_e32 v10, 0, v10, vcc
	v_cmp_nlt_f32_e32 vcc, s20, v0
	v_sub_f32_e32 v3, v3, v8
	v_sub_f32_e32 v4, v4, v8
	v_cndmask_b32_e32 v0, v15, v10, vcc
	v_ldexp_f32 v10, v16, v17
	v_mul_f32_e32 v16, 0x3fb8aa3b, v2
	v_fma_f32 v17, v2, s16, -v16
	v_rndne_f32_e32 v18, v16
	v_fmac_f32_e32 v17, 0x32a5705f, v2
	v_sub_f32_e32 v16, v16, v18
	v_add_f32_e32 v16, v16, v17
	v_exp_f32_e32 v16, v16
	v_cvt_i32_f32_e32 v17, v18
	v_cmp_ngt_f32_e32 vcc, s18, v1
	v_cndmask_b32_e64 v0, 0, v0, s[14:15]
	v_sub_f32_e32 v5, v5, v8
	v_ldexp_f32 v16, v16, v17
	v_mul_f32_e32 v17, 0x3fb8aa3b, v3
	v_fma_f32 v18, v3, s16, -v17
	v_rndne_f32_e32 v19, v17
	v_fmac_f32_e32 v18, 0x32a5705f, v3
	v_sub_f32_e32 v17, v17, v19
	v_cndmask_b32_e32 v10, 0, v10, vcc
	v_cmp_nlt_f32_e32 vcc, s20, v1
	v_add_f32_e32 v17, v17, v18
	v_exp_f32_e32 v17, v17
	v_cndmask_b32_e32 v1, v15, v10, vcc
	v_cmp_ngt_f32_e32 vcc, s18, v2
	v_cvt_i32_f32_e32 v18, v19
	v_add_f32_e32 v10, v1, v0
	v_cndmask_b32_e32 v16, 0, v16, vcc
	v_cmp_nlt_f32_e32 vcc, s20, v2
	v_cndmask_b32_e64 v10, v0, v10, s[12:13]
	v_sub_f32_e32 v6, v6, v8
	v_cndmask_b32_e32 v2, v15, v16, vcc
	v_add_f32_e32 v16, v10, v2
	v_cndmask_b32_e64 v10, v10, v16, s[10:11]
	v_ldexp_f32 v16, v17, v18
	v_mul_f32_e32 v17, 0x3fb8aa3b, v4
	v_fma_f32 v18, v4, s16, -v17
	v_rndne_f32_e32 v19, v17
	v_fmac_f32_e32 v18, 0x32a5705f, v4
	v_sub_f32_e32 v17, v17, v19
	v_add_f32_e32 v17, v17, v18
	v_cmp_ngt_f32_e32 vcc, s18, v3
	v_exp_f32_e32 v17, v17
	v_cvt_i32_f32_e32 v18, v19
	v_cndmask_b32_e32 v16, 0, v16, vcc
	v_cmp_nlt_f32_e32 vcc, s20, v3
	v_sub_f32_e32 v7, v7, v8
	v_mul_f32_e32 v8, 0x3fb8aa3b, v7
	v_cndmask_b32_e32 v3, v15, v16, vcc
	v_add_f32_e32 v16, v10, v3
	v_cndmask_b32_e64 v10, v10, v16, s[8:9]
	v_ldexp_f32 v16, v17, v18
	v_mul_f32_e32 v17, 0x3fb8aa3b, v5
	v_fma_f32 v18, v5, s16, -v17
	v_rndne_f32_e32 v19, v17
	v_fmac_f32_e32 v18, 0x32a5705f, v5
	v_sub_f32_e32 v17, v17, v19
	v_add_f32_e32 v17, v17, v18
	v_cmp_ngt_f32_e32 vcc, s18, v4
	v_exp_f32_e32 v17, v17
	v_cvt_i32_f32_e32 v18, v19
	v_cndmask_b32_e32 v16, 0, v16, vcc
	v_cmp_nlt_f32_e32 vcc, s20, v4
	v_cndmask_b32_e64 v1, 0, v1, s[12:13]
	v_cndmask_b32_e64 v2, 0, v2, s[10:11]
	v_cndmask_b32_e32 v4, v15, v16, vcc
	v_add_f32_e32 v16, v10, v4
	v_cndmask_b32_e64 v10, v10, v16, s[6:7]
	v_ldexp_f32 v16, v17, v18
	v_mul_f32_e32 v17, 0x3fb8aa3b, v6
	v_fma_f32 v18, v6, s16, -v17
	v_rndne_f32_e32 v19, v17
	v_fmac_f32_e32 v18, 0x32a5705f, v6
	v_sub_f32_e32 v17, v17, v19
	v_add_f32_e32 v17, v17, v18
	v_cmp_ngt_f32_e32 vcc, s18, v5
	v_exp_f32_e32 v17, v17
	v_cvt_i32_f32_e32 v18, v19
	v_cndmask_b32_e32 v16, 0, v16, vcc
	v_cmp_nlt_f32_e32 vcc, s20, v5
	v_cndmask_b32_e64 v3, 0, v3, s[8:9]
	v_cndmask_b32_e64 v4, 0, v4, s[6:7]
	v_cndmask_b32_e32 v5, v15, v16, vcc
	v_add_f32_e32 v16, v10, v5
	v_cndmask_b32_e64 v10, v10, v16, s[4:5]
	v_ldexp_f32 v16, v17, v18
	v_fma_f32 v17, v7, s16, -v8
	v_rndne_f32_e32 v18, v8
	v_fmac_f32_e32 v17, 0x32a5705f, v7
	v_sub_f32_e32 v8, v8, v18
	v_add_f32_e32 v8, v8, v17
	v_exp_f32_e32 v8, v8
	v_cvt_i32_f32_e32 v17, v18
	v_cmp_ngt_f32_e32 vcc, s18, v6
	v_cndmask_b32_e64 v5, 0, v5, s[4:5]
	v_ldexp_f32 v8, v8, v17
	v_cndmask_b32_e32 v16, 0, v16, vcc
	v_cmp_nlt_f32_e32 vcc, s20, v6
	s_nop 1
	v_cndmask_b32_e32 v6, v15, v16, vcc
	v_cmp_ngt_f32_e32 vcc, s18, v7
	v_add_f32_e32 v16, v10, v6
	v_cndmask_b32_e64 v10, v10, v16, s[2:3]
	v_cndmask_b32_e32 v8, 0, v8, vcc
	v_cmp_nlt_f32_e32 vcc, s20, v7
	v_cndmask_b32_e64 v6, 0, v6, s[2:3]
	s_nop 0
	v_cndmask_b32_e32 v7, v15, v8, vcc
	v_add_f32_e32 v8, v10, v7
	v_cndmask_b32_e64 v8, v10, v8, s[0:1]
	ds_bpermute_b32 v10, v11, v8
	v_cndmask_b32_e64 v7, 0, v7, s[0:1]
	s_waitcnt lgkmcnt(0)
	v_add_f32_e32 v8, v8, v10
	ds_bpermute_b32 v10, v12, v8
	s_waitcnt lgkmcnt(0)
	v_add_f32_e32 v8, v8, v10
	ds_bpermute_b32 v10, v13, v8
	;; [unrolled: 3-line block ×4, first 2 shown]
	s_waitcnt lgkmcnt(0)
	v_add_f32_e32 v8, v8, v9
	v_div_scale_f32 v9, s[20:21], v8, v8, 1.0
	v_rcp_f32_e32 v10, v9
	s_nop 0
	v_fma_f32 v11, -v9, v10, 1.0
	v_fmac_f32_e32 v10, v11, v10
	v_div_scale_f32 v11, vcc, 1.0, v8, 1.0
	v_mul_f32_e32 v12, v11, v10
	v_fma_f32 v13, -v9, v12, v11
	v_fmac_f32_e32 v12, v13, v10
	v_fma_f32 v9, -v9, v12, v11
	v_div_fmas_f32 v9, v9, v10, v12
	v_div_fixup_f32 v8, v9, v8, 1.0
	v_mul_f32_e32 v9, v0, v8
	v_cndmask_b32_e64 v0, v0, v9, s[14:15]
	v_mul_f32_e32 v9, v1, v8
	v_cndmask_b32_e64 v1, v1, v9, s[12:13]
	;; [unrolled: 2-line block ×6, first 2 shown]
	v_mul_f32_e32 v9, v6, v8
	v_mul_f32_e32 v8, v7, v8
	v_cndmask_b32_e64 v6, v6, v9, s[2:3]
	v_cndmask_b32_e64 v7, v7, v8, s[0:1]
.LBB19_42:
	v_mul_lo_u32 v10, v24, s17
	v_mov_b32_e32 v8, s22
	v_mov_b32_e32 v9, s23
	v_ashrrev_i32_e32 v11, 31, v10
	v_lshl_add_u64 v[8:9], v[10:11], 2, v[8:9]
	v_cmp_gt_i32_e32 vcc, s17, v25
	s_and_saveexec_b64 s[0:1], vcc
	s_cbranch_execnz .LBB19_52
; %bb.43:
	s_or_b64 exec, exec, s[0:1]
	v_cmp_gt_i32_e32 vcc, s17, v32
	s_and_saveexec_b64 s[0:1], vcc
	s_cbranch_execnz .LBB19_53
.LBB19_44:
	s_or_b64 exec, exec, s[0:1]
	v_cmp_gt_i32_e32 vcc, s17, v31
	s_and_saveexec_b64 s[0:1], vcc
	s_cbranch_execnz .LBB19_54
.LBB19_45:
	s_or_b64 exec, exec, s[0:1]
	v_cmp_gt_i32_e32 vcc, s17, v30
	s_and_saveexec_b64 s[0:1], vcc
	s_cbranch_execnz .LBB19_55
.LBB19_46:
	s_or_b64 exec, exec, s[0:1]
	v_cmp_gt_i32_e32 vcc, s17, v29
	s_and_saveexec_b64 s[0:1], vcc
	s_cbranch_execnz .LBB19_56
.LBB19_47:
	s_or_b64 exec, exec, s[0:1]
	v_cmp_gt_i32_e32 vcc, s17, v28
	s_and_saveexec_b64 s[0:1], vcc
	s_cbranch_execnz .LBB19_57
.LBB19_48:
	s_or_b64 exec, exec, s[0:1]
	v_cmp_gt_i32_e32 vcc, s17, v27
	s_and_saveexec_b64 s[0:1], vcc
	s_cbranch_execnz .LBB19_58
.LBB19_49:
	s_or_b64 exec, exec, s[0:1]
	v_cmp_gt_i32_e32 vcc, s17, v26
	s_and_b64 exec, exec, vcc
	s_cbranch_execz .LBB19_51
.LBB19_50:
	v_mov_b32_e32 v23, 0
	v_lshl_add_u64 v[0:1], v[8:9], 0, v[22:23]
	v_mul_f32_e32 v2, s19, v7
	global_store_dword v[0:1], v2, off offset:896
.LBB19_51:
	s_endpgm
.LBB19_52:
	v_mov_b32_e32 v23, 0
	v_lshl_add_u64 v[10:11], v[8:9], 0, v[22:23]
	v_mul_f32_e32 v0, s19, v0
	global_store_dword v[10:11], v0, off
	s_or_b64 exec, exec, s[0:1]
	v_cmp_gt_i32_e32 vcc, s17, v32
	s_and_saveexec_b64 s[0:1], vcc
	s_cbranch_execz .LBB19_44
.LBB19_53:
	v_mov_b32_e32 v23, 0
	v_lshl_add_u64 v[10:11], v[8:9], 0, v[22:23]
	v_mul_f32_e32 v0, s19, v1
	global_store_dword v[10:11], v0, off offset:128
	s_or_b64 exec, exec, s[0:1]
	v_cmp_gt_i32_e32 vcc, s17, v31
	s_and_saveexec_b64 s[0:1], vcc
	s_cbranch_execz .LBB19_45
.LBB19_54:
	v_mov_b32_e32 v23, 0
	v_lshl_add_u64 v[0:1], v[8:9], 0, v[22:23]
	v_mul_f32_e32 v2, s19, v2
	global_store_dword v[0:1], v2, off offset:256
	s_or_b64 exec, exec, s[0:1]
	v_cmp_gt_i32_e32 vcc, s17, v30
	s_and_saveexec_b64 s[0:1], vcc
	s_cbranch_execz .LBB19_46
.LBB19_55:
	v_mov_b32_e32 v23, 0
	v_lshl_add_u64 v[0:1], v[8:9], 0, v[22:23]
	v_mul_f32_e32 v2, s19, v3
	global_store_dword v[0:1], v2, off offset:384
	s_or_b64 exec, exec, s[0:1]
	v_cmp_gt_i32_e32 vcc, s17, v29
	s_and_saveexec_b64 s[0:1], vcc
	s_cbranch_execz .LBB19_47
.LBB19_56:
	v_mov_b32_e32 v23, 0
	v_lshl_add_u64 v[0:1], v[8:9], 0, v[22:23]
	v_mul_f32_e32 v2, s19, v4
	global_store_dword v[0:1], v2, off offset:512
	s_or_b64 exec, exec, s[0:1]
	v_cmp_gt_i32_e32 vcc, s17, v28
	s_and_saveexec_b64 s[0:1], vcc
	s_cbranch_execz .LBB19_48
.LBB19_57:
	v_mov_b32_e32 v23, 0
	v_lshl_add_u64 v[0:1], v[8:9], 0, v[22:23]
	v_mul_f32_e32 v2, s19, v5
	global_store_dword v[0:1], v2, off offset:640
	s_or_b64 exec, exec, s[0:1]
	v_cmp_gt_i32_e32 vcc, s17, v27
	s_and_saveexec_b64 s[0:1], vcc
	s_cbranch_execz .LBB19_49
.LBB19_58:
	v_mov_b32_e32 v23, 0
	v_lshl_add_u64 v[0:1], v[8:9], 0, v[22:23]
	v_mul_f32_e32 v2, s19, v6
	global_store_dword v[0:1], v2, off offset:768
	s_or_b64 exec, exec, s[0:1]
	v_cmp_gt_i32_e32 vcc, s17, v26
	s_and_b64 exec, exec, vcc
	s_cbranch_execnz .LBB19_50
	s_branch .LBB19_51
	.section	.rodata,"a",@progbits
	.p2align	6, 0x0
	.amdhsa_kernel _Z13topk_moe_cudaILi256ELb0EEvPKfPfPiS2_iiff15topk_moe_config
		.amdhsa_group_segment_fixed_size 0
		.amdhsa_private_segment_fixed_size 0
		.amdhsa_kernarg_size 312
		.amdhsa_user_sgpr_count 2
		.amdhsa_user_sgpr_dispatch_ptr 0
		.amdhsa_user_sgpr_queue_ptr 0
		.amdhsa_user_sgpr_kernarg_segment_ptr 1
		.amdhsa_user_sgpr_dispatch_id 0
		.amdhsa_user_sgpr_kernarg_preload_length 0
		.amdhsa_user_sgpr_kernarg_preload_offset 0
		.amdhsa_user_sgpr_private_segment_size 0
		.amdhsa_uses_dynamic_stack 0
		.amdhsa_enable_private_segment 0
		.amdhsa_system_sgpr_workgroup_id_x 1
		.amdhsa_system_sgpr_workgroup_id_y 0
		.amdhsa_system_sgpr_workgroup_id_z 0
		.amdhsa_system_sgpr_workgroup_info 0
		.amdhsa_system_vgpr_workitem_id 1
		.amdhsa_next_free_vgpr 40
		.amdhsa_next_free_sgpr 28
		.amdhsa_accum_offset 40
		.amdhsa_reserve_vcc 1
		.amdhsa_float_round_mode_32 0
		.amdhsa_float_round_mode_16_64 0
		.amdhsa_float_denorm_mode_32 3
		.amdhsa_float_denorm_mode_16_64 3
		.amdhsa_dx10_clamp 1
		.amdhsa_ieee_mode 1
		.amdhsa_fp16_overflow 0
		.amdhsa_tg_split 0
		.amdhsa_exception_fp_ieee_invalid_op 0
		.amdhsa_exception_fp_denorm_src 0
		.amdhsa_exception_fp_ieee_div_zero 0
		.amdhsa_exception_fp_ieee_overflow 0
		.amdhsa_exception_fp_ieee_underflow 0
		.amdhsa_exception_fp_ieee_inexact 0
		.amdhsa_exception_int_div_zero 0
	.end_amdhsa_kernel
	.section	.text._Z13topk_moe_cudaILi256ELb0EEvPKfPfPiS2_iiff15topk_moe_config,"axG",@progbits,_Z13topk_moe_cudaILi256ELb0EEvPKfPfPiS2_iiff15topk_moe_config,comdat
.Lfunc_end19:
	.size	_Z13topk_moe_cudaILi256ELb0EEvPKfPfPiS2_iiff15topk_moe_config, .Lfunc_end19-_Z13topk_moe_cudaILi256ELb0EEvPKfPfPiS2_iiff15topk_moe_config
                                        ; -- End function
	.set _Z13topk_moe_cudaILi256ELb0EEvPKfPfPiS2_iiff15topk_moe_config.num_vgpr, 40
	.set _Z13topk_moe_cudaILi256ELb0EEvPKfPfPiS2_iiff15topk_moe_config.num_agpr, 0
	.set _Z13topk_moe_cudaILi256ELb0EEvPKfPfPiS2_iiff15topk_moe_config.numbered_sgpr, 28
	.set _Z13topk_moe_cudaILi256ELb0EEvPKfPfPiS2_iiff15topk_moe_config.num_named_barrier, 0
	.set _Z13topk_moe_cudaILi256ELb0EEvPKfPfPiS2_iiff15topk_moe_config.private_seg_size, 0
	.set _Z13topk_moe_cudaILi256ELb0EEvPKfPfPiS2_iiff15topk_moe_config.uses_vcc, 1
	.set _Z13topk_moe_cudaILi256ELb0EEvPKfPfPiS2_iiff15topk_moe_config.uses_flat_scratch, 0
	.set _Z13topk_moe_cudaILi256ELb0EEvPKfPfPiS2_iiff15topk_moe_config.has_dyn_sized_stack, 0
	.set _Z13topk_moe_cudaILi256ELb0EEvPKfPfPiS2_iiff15topk_moe_config.has_recursion, 0
	.set _Z13topk_moe_cudaILi256ELb0EEvPKfPfPiS2_iiff15topk_moe_config.has_indirect_call, 0
	.section	.AMDGPU.csdata,"",@progbits
; Kernel info:
; codeLenInByte = 6428
; TotalNumSgprs: 34
; NumVgprs: 40
; NumAgprs: 0
; TotalNumVgprs: 40
; ScratchSize: 0
; MemoryBound: 0
; FloatMode: 240
; IeeeMode: 1
; LDSByteSize: 0 bytes/workgroup (compile time only)
; SGPRBlocks: 4
; VGPRBlocks: 4
; NumSGPRsForWavesPerEU: 34
; NumVGPRsForWavesPerEU: 40
; AccumOffset: 40
; Occupancy: 8
; WaveLimiterHint : 1
; COMPUTE_PGM_RSRC2:SCRATCH_EN: 0
; COMPUTE_PGM_RSRC2:USER_SGPR: 2
; COMPUTE_PGM_RSRC2:TRAP_HANDLER: 0
; COMPUTE_PGM_RSRC2:TGID_X_EN: 1
; COMPUTE_PGM_RSRC2:TGID_Y_EN: 0
; COMPUTE_PGM_RSRC2:TGID_Z_EN: 0
; COMPUTE_PGM_RSRC2:TIDIG_COMP_CNT: 1
; COMPUTE_PGM_RSRC3_GFX90A:ACCUM_OFFSET: 9
; COMPUTE_PGM_RSRC3_GFX90A:TG_SPLIT: 0
	.section	.text._Z13topk_moe_cudaILi512ELb0EEvPKfPfPiS2_iiff15topk_moe_config,"axG",@progbits,_Z13topk_moe_cudaILi512ELb0EEvPKfPfPiS2_iiff15topk_moe_config,comdat
	.protected	_Z13topk_moe_cudaILi512ELb0EEvPKfPfPiS2_iiff15topk_moe_config ; -- Begin function _Z13topk_moe_cudaILi512ELb0EEvPKfPfPiS2_iiff15topk_moe_config
	.globl	_Z13topk_moe_cudaILi512ELb0EEvPKfPfPiS2_iiff15topk_moe_config
	.p2align	8
	.type	_Z13topk_moe_cudaILi512ELb0EEvPKfPfPiS2_iiff15topk_moe_config,@function
_Z13topk_moe_cudaILi512ELb0EEvPKfPfPiS2_iiff15topk_moe_config: ; @_Z13topk_moe_cudaILi512ELb0EEvPKfPfPiS2_iiff15topk_moe_config
; %bb.0:
	s_load_dword s3, s[0:1], 0x44
	s_load_dwordx4 s[36:39], s[0:1], 0x20
	v_bfe_u32 v1, v0, 10, 10
	s_waitcnt lgkmcnt(0)
	s_lshr_b32 s3, s3, 16
	s_mul_i32 s2, s2, s3
	v_add_u32_e32 v33, s2, v1
	v_cmp_gt_i32_e32 vcc, s36, v33
	s_and_saveexec_b64 s[2:3], vcc
	s_cbranch_execz .LBB20_59
; %bb.1:
	s_load_dwordx4 s[40:43], s[0:1], 0x0
	v_mov_b32_e32 v51, 0
	v_lshlrev_b32_e32 v2, 9, v33
	global_load_ushort v1, v51, s[0:1] offset:48
	v_ashrrev_i32_e32 v3, 31, v2
	s_waitcnt lgkmcnt(0)
	v_mov_b32_e32 v4, s40
	v_mov_b32_e32 v5, s41
	v_and_b32_e32 v54, 0x3ff, v0
	v_lshl_add_u64 v[4:5], v[2:3], 2, v[4:5]
	v_lshlrev_b32_e32 v50, 2, v54
	v_lshl_add_u64 v[4:5], v[4:5], 0, v[50:51]
	global_load_dword v18, v[4:5], off
	global_load_dword v34, v[4:5], off offset:128
	global_load_dword v20, v[4:5], off offset:256
	;; [unrolled: 1-line block ×15, first 2 shown]
	s_load_dwordx2 s[2:3], s[0:1], 0x10
	s_nop 0
	s_load_dword s0, s[0:1], 0x30
	s_waitcnt vmcnt(16)
	v_readfirstlane_b32 s1, v1
	s_and_b32 s4, 0xffff, s1
	s_waitcnt lgkmcnt(0)
	s_bitcmp1_b32 s0, 16
	s_cselect_b64 s[34:35], -1, 0
	s_and_b64 vcc, exec, s[34:35]
	s_cbranch_vccnz .LBB20_7
; %bb.2:
	v_and_b32_e32 v0, 1, v1
	v_cmp_eq_u32_e32 vcc, 0, v0
	s_cbranch_vccz .LBB20_4
; %bb.3:
	s_mov_b32 s0, 0xff800000
	s_waitcnt vmcnt(14)
	v_max3_f32 v0, v18, s0, v34
	s_waitcnt vmcnt(12)
	v_max3_f32 v0, v0, v20, v19
	v_mbcnt_lo_u32_b32 v1, -1, 0
	s_waitcnt vmcnt(10)
	v_max3_f32 v0, v0, v22, v21
	v_mbcnt_hi_u32_b32 v1, -1, v1
	s_waitcnt vmcnt(8)
	v_max3_f32 v0, v0, v24, v23
	v_and_b32_e32 v4, 0x60, v1
	s_waitcnt vmcnt(6)
	v_max3_f32 v0, v0, v26, v25
	v_add_u32_e32 v4, 32, v4
	v_xor_b32_e32 v5, 16, v1
	s_waitcnt vmcnt(4)
	v_max3_f32 v0, v0, v28, v27
	v_cmp_lt_i32_e32 vcc, v5, v4
	s_waitcnt vmcnt(2)
	v_max3_f32 v0, v0, v30, v29
	s_waitcnt vmcnt(0)
	v_max3_f32 v0, v0, v32, v31
	v_cndmask_b32_e32 v5, v1, v5, vcc
	v_lshlrev_b32_e32 v35, 2, v5
	ds_bpermute_b32 v5, v35, v0
	s_mov_b32 s1, 0x3fb8aa3b
	s_mov_b32 s0, 0xc2ce8ed0
	;; [unrolled: 1-line block ×3, first 2 shown]
	v_mov_b32_e32 v9, 0x7f800000
	s_waitcnt lgkmcnt(0)
	v_max_f32_e32 v5, v5, v5
	v_max_f32_e32 v0, v0, v5
	v_xor_b32_e32 v5, 8, v1
	v_cmp_lt_i32_e32 vcc, v5, v4
	s_nop 1
	v_cndmask_b32_e32 v5, v1, v5, vcc
	v_lshlrev_b32_e32 v36, 2, v5
	ds_bpermute_b32 v5, v36, v0
	s_waitcnt lgkmcnt(0)
	v_max_f32_e32 v5, v5, v5
	v_max_f32_e32 v0, v0, v5
	v_xor_b32_e32 v5, 4, v1
	v_cmp_lt_i32_e32 vcc, v5, v4
	s_nop 1
	v_cndmask_b32_e32 v5, v1, v5, vcc
	v_lshlrev_b32_e32 v37, 2, v5
	ds_bpermute_b32 v5, v37, v0
	;; [unrolled: 9-line block ×4, first 2 shown]
	s_waitcnt lgkmcnt(0)
	v_max_f32_e32 v1, v1, v1
	v_max_f32_e32 v8, v0, v1
	v_sub_f32_e32 v0, v18, v8
	v_mul_f32_e32 v1, 0x3fb8aa3b, v0
	v_fma_f32 v4, v0, s1, -v1
	v_rndne_f32_e32 v5, v1
	v_fmac_f32_e32 v4, 0x32a5705f, v0
	v_sub_f32_e32 v1, v1, v5
	v_add_f32_e32 v1, v1, v4
	v_exp_f32_e32 v1, v1
	v_cvt_i32_f32_e32 v4, v5
	v_cmp_ngt_f32_e32 vcc, s0, v0
	v_ldexp_f32 v1, v1, v4
	v_sub_f32_e32 v4, v34, v8
	v_mul_f32_e32 v5, 0x3fb8aa3b, v4
	v_fma_f32 v6, v4, s1, -v5
	v_rndne_f32_e32 v7, v5
	v_fmac_f32_e32 v6, 0x32a5705f, v4
	v_sub_f32_e32 v5, v5, v7
	v_add_f32_e32 v5, v5, v6
	v_exp_f32_e32 v5, v5
	v_cvt_i32_f32_e32 v6, v7
	v_cndmask_b32_e32 v1, 0, v1, vcc
	v_cmp_nlt_f32_e32 vcc, s5, v0
	s_nop 1
	v_cndmask_b32_e32 v0, v9, v1, vcc
	v_ldexp_f32 v1, v5, v6
	v_sub_f32_e32 v5, v20, v8
	v_mul_f32_e32 v6, 0x3fb8aa3b, v5
	v_fma_f32 v7, v5, s1, -v6
	v_rndne_f32_e32 v10, v6
	v_fmac_f32_e32 v7, 0x32a5705f, v5
	v_sub_f32_e32 v6, v6, v10
	v_add_f32_e32 v6, v6, v7
	v_exp_f32_e32 v6, v6
	v_cvt_i32_f32_e32 v7, v10
	v_cmp_ngt_f32_e32 vcc, s0, v4
	s_nop 1
	v_cndmask_b32_e32 v1, 0, v1, vcc
	v_cmp_nlt_f32_e32 vcc, s5, v4
	v_ldexp_f32 v4, v6, v7
	v_sub_f32_e32 v6, v19, v8
	v_mul_f32_e32 v7, 0x3fb8aa3b, v6
	v_fma_f32 v11, v6, s1, -v7
	v_rndne_f32_e32 v12, v7
	v_fmac_f32_e32 v11, 0x32a5705f, v6
	v_sub_f32_e32 v7, v7, v12
	v_add_f32_e32 v7, v7, v11
	v_exp_f32_e32 v7, v7
	v_cvt_i32_f32_e32 v11, v12
	v_cndmask_b32_e32 v1, v9, v1, vcc
	v_cmp_ngt_f32_e32 vcc, s0, v5
	v_add_f32_e32 v10, v0, v1
	s_nop 0
	v_cndmask_b32_e32 v4, 0, v4, vcc
	v_cmp_nlt_f32_e32 vcc, s5, v5
	v_ldexp_f32 v5, v7, v11
	v_sub_f32_e32 v7, v22, v8
	v_mul_f32_e32 v11, 0x3fb8aa3b, v7
	v_fma_f32 v12, v7, s1, -v11
	v_rndne_f32_e32 v13, v11
	v_fmac_f32_e32 v12, 0x32a5705f, v7
	v_sub_f32_e32 v11, v11, v13
	v_add_f32_e32 v11, v11, v12
	v_exp_f32_e32 v11, v11
	v_cvt_i32_f32_e32 v12, v13
	v_cndmask_b32_e32 v4, v9, v4, vcc
	v_cmp_ngt_f32_e32 vcc, s0, v6
	v_add_f32_e32 v10, v4, v10
	;; [unrolled: 16-line block ×4, first 2 shown]
	s_nop 0
	v_cndmask_b32_e32 v7, 0, v7, vcc
	v_cmp_nlt_f32_e32 vcc, s5, v11
	s_nop 1
	v_cndmask_b32_e32 v7, v9, v7, vcc
	v_add_f32_e32 v11, v7, v10
	v_ldexp_f32 v10, v13, v14
	v_sub_f32_e32 v13, v23, v8
	v_mul_f32_e32 v14, 0x3fb8aa3b, v13
	v_fma_f32 v15, v13, s1, -v14
	v_rndne_f32_e32 v16, v14
	v_fmac_f32_e32 v15, 0x32a5705f, v13
	v_sub_f32_e32 v14, v14, v16
	v_add_f32_e32 v14, v14, v15
	v_exp_f32_e32 v14, v14
	v_cvt_i32_f32_e32 v15, v16
	v_cmp_ngt_f32_e32 vcc, s0, v12
	s_nop 1
	v_cndmask_b32_e32 v10, 0, v10, vcc
	v_cmp_nlt_f32_e32 vcc, s5, v12
	s_nop 1
	v_cndmask_b32_e32 v10, v9, v10, vcc
	v_add_f32_e32 v12, v10, v11
	v_ldexp_f32 v11, v14, v15
	v_sub_f32_e32 v14, v26, v8
	v_mul_f32_e32 v15, 0x3fb8aa3b, v14
	v_fma_f32 v16, v14, s1, -v15
	v_rndne_f32_e32 v17, v15
	v_fmac_f32_e32 v16, 0x32a5705f, v14
	v_sub_f32_e32 v15, v15, v17
	v_add_f32_e32 v15, v15, v16
	v_exp_f32_e32 v15, v15
	v_cvt_i32_f32_e32 v16, v17
	v_cmp_ngt_f32_e32 vcc, s0, v13
	s_nop 1
	v_cndmask_b32_e32 v11, 0, v11, vcc
	v_cmp_nlt_f32_e32 vcc, s5, v13
	v_ldexp_f32 v13, v15, v16
	v_sub_f32_e32 v15, v25, v8
	v_mul_f32_e32 v16, 0x3fb8aa3b, v15
	v_fma_f32 v17, v15, s1, -v16
	v_rndne_f32_e32 v40, v16
	v_fmac_f32_e32 v17, 0x32a5705f, v15
	v_sub_f32_e32 v16, v16, v40
	v_add_f32_e32 v16, v16, v17
	v_exp_f32_e32 v16, v16
	v_cvt_i32_f32_e32 v17, v40
	v_cndmask_b32_e32 v11, v9, v11, vcc
	v_cmp_ngt_f32_e32 vcc, s0, v14
	v_add_f32_e32 v12, v11, v12
	s_nop 0
	v_cndmask_b32_e32 v13, 0, v13, vcc
	v_cmp_nlt_f32_e32 vcc, s5, v14
	s_nop 1
	v_cndmask_b32_e32 v14, v9, v13, vcc
	v_ldexp_f32 v13, v16, v17
	v_sub_f32_e32 v16, v28, v8
	v_mul_f32_e32 v17, 0x3fb8aa3b, v16
	v_fma_f32 v40, v16, s1, -v17
	v_rndne_f32_e32 v41, v17
	v_fmac_f32_e32 v40, 0x32a5705f, v16
	v_sub_f32_e32 v17, v17, v41
	v_add_f32_e32 v17, v17, v40
	v_exp_f32_e32 v17, v17
	v_cvt_i32_f32_e32 v40, v41
	v_cmp_ngt_f32_e32 vcc, s0, v15
	v_add_f32_e32 v12, v14, v12
	s_nop 0
	v_cndmask_b32_e32 v13, 0, v13, vcc
	v_cmp_nlt_f32_e32 vcc, s5, v15
	s_nop 1
	v_cndmask_b32_e32 v15, v9, v13, vcc
	v_ldexp_f32 v13, v17, v40
	v_sub_f32_e32 v17, v27, v8
	v_mul_f32_e32 v40, 0x3fb8aa3b, v17
	v_fma_f32 v41, v17, s1, -v40
	v_rndne_f32_e32 v42, v40
	v_fmac_f32_e32 v41, 0x32a5705f, v17
	v_sub_f32_e32 v40, v40, v42
	v_add_f32_e32 v40, v40, v41
	v_exp_f32_e32 v40, v40
	v_cvt_i32_f32_e32 v41, v42
	;; [unrolled: 17-line block ×3, first 2 shown]
	v_cmp_ngt_f32_e32 vcc, s0, v17
	v_add_f32_e32 v12, v16, v12
	s_nop 0
	v_cndmask_b32_e32 v13, 0, v13, vcc
	v_cmp_nlt_f32_e32 vcc, s5, v17
	s_nop 1
	v_cndmask_b32_e32 v17, v9, v13, vcc
	v_add_f32_e32 v13, v17, v12
	v_ldexp_f32 v12, v41, v42
	v_sub_f32_e32 v41, v29, v8
	v_mul_f32_e32 v42, 0x3fb8aa3b, v41
	v_fma_f32 v43, v41, s1, -v42
	v_rndne_f32_e32 v44, v42
	v_fmac_f32_e32 v43, 0x32a5705f, v41
	v_sub_f32_e32 v42, v42, v44
	v_add_f32_e32 v42, v42, v43
	v_exp_f32_e32 v42, v42
	v_cvt_i32_f32_e32 v43, v44
	v_cmp_ngt_f32_e32 vcc, s0, v40
	s_nop 1
	v_cndmask_b32_e32 v12, 0, v12, vcc
	v_cmp_nlt_f32_e32 vcc, s5, v40
	s_nop 1
	v_cndmask_b32_e32 v12, v9, v12, vcc
	v_add_f32_e32 v40, v12, v13
	v_ldexp_f32 v13, v42, v43
	v_sub_f32_e32 v42, v32, v8
	v_mul_f32_e32 v43, 0x3fb8aa3b, v42
	v_fma_f32 v44, v42, s1, -v43
	v_rndne_f32_e32 v45, v43
	v_fmac_f32_e32 v44, 0x32a5705f, v42
	v_sub_f32_e32 v43, v43, v45
	v_add_f32_e32 v43, v43, v44
	v_exp_f32_e32 v43, v43
	v_cvt_i32_f32_e32 v44, v45
	v_cmp_ngt_f32_e32 vcc, s0, v41
	s_nop 1
	v_cndmask_b32_e32 v13, 0, v13, vcc
	v_cmp_nlt_f32_e32 vcc, s5, v41
	v_ldexp_f32 v41, v43, v44
	v_sub_f32_e32 v43, v31, v8
	v_mul_f32_e32 v8, 0x3fb8aa3b, v43
	v_fma_f32 v44, v43, s1, -v8
	v_rndne_f32_e32 v45, v8
	v_fmac_f32_e32 v44, 0x32a5705f, v43
	v_sub_f32_e32 v8, v8, v45
	v_add_f32_e32 v8, v8, v44
	v_exp_f32_e32 v44, v8
	v_cvt_i32_f32_e32 v45, v45
	v_cndmask_b32_e32 v13, v9, v13, vcc
	v_cmp_ngt_f32_e32 vcc, s0, v42
	v_add_f32_e32 v40, v13, v40
	s_nop 0
	v_cndmask_b32_e32 v41, 0, v41, vcc
	v_cmp_nlt_f32_e32 vcc, s5, v42
	s_nop 1
	v_cndmask_b32_e32 v8, v9, v41, vcc
	v_ldexp_f32 v41, v44, v45
	v_cmp_ngt_f32_e32 vcc, s0, v43
	v_add_f32_e32 v40, v8, v40
	s_nop 0
	v_cndmask_b32_e32 v41, 0, v41, vcc
	v_cmp_nlt_f32_e32 vcc, s5, v43
	s_nop 1
	v_cndmask_b32_e32 v9, v9, v41, vcc
	v_add_f32_e32 v40, v9, v40
	ds_bpermute_b32 v35, v35, v40
	s_waitcnt lgkmcnt(0)
	v_add_f32_e32 v35, v40, v35
	ds_bpermute_b32 v36, v36, v35
	s_waitcnt lgkmcnt(0)
	;; [unrolled: 3-line block ×5, first 2 shown]
	v_add_f32_e32 v35, v35, v36
	v_div_scale_f32 v36, s[0:1], v35, v35, 1.0
	v_rcp_f32_e32 v37, v36
	s_nop 0
	v_fma_f32 v38, -v36, v37, 1.0
	v_fmac_f32_e32 v37, v38, v37
	v_div_scale_f32 v38, vcc, 1.0, v35, 1.0
	v_mul_f32_e32 v39, v38, v37
	v_fma_f32 v40, -v36, v39, v38
	v_fmac_f32_e32 v39, v40, v37
	v_fma_f32 v36, -v36, v39, v38
	v_div_fmas_f32 v36, v36, v37, v39
	v_div_fixup_f32 v36, v36, v35, 1.0
	v_pk_mul_f32 v[8:9], v[8:9], v[36:37] op_sel_hi:[1,0]
	v_pk_mul_f32 v[12:13], v[12:13], v[36:37] op_sel_hi:[1,0]
	;; [unrolled: 1-line block ×8, first 2 shown]
	s_cbranch_execz .LBB20_5
	s_branch .LBB20_6
.LBB20_4:
                                        ; implicit-def: $vgpr9
                                        ; implicit-def: $vgpr13
                                        ; implicit-def: $vgpr17
                                        ; implicit-def: $vgpr15
                                        ; implicit-def: $vgpr11
                                        ; implicit-def: $vgpr7
                                        ; implicit-def: $vgpr5
                                        ; implicit-def: $vgpr1
.LBB20_5:
	s_waitcnt vmcnt(15)
	v_mul_f32_e32 v0, 0xbfb8aa3b, v18
	s_mov_b32 s0, 0xbfb8aa3b
	v_rndne_f32_e32 v1, v0
	v_sub_f32_e32 v4, v0, v1
	v_fma_f32 v0, v18, s0, -v0
	v_fmac_f32_e32 v0, 0xb2a5705f, v18
	v_add_f32_e32 v0, v4, v0
	v_exp_f32_e32 v0, v0
	v_cvt_i32_f32_e32 v1, v1
	s_mov_b32 s1, 0x42ce8ed0
	v_cmp_nlt_f32_e32 vcc, s1, v18
	s_mov_b32 s5, 0xc2b17218
	v_ldexp_f32 v0, v0, v1
	s_waitcnt vmcnt(14)
	v_mul_f32_e32 v1, 0xbfb8aa3b, v34
	v_rndne_f32_e32 v4, v1
	v_sub_f32_e32 v5, v1, v4
	v_fma_f32 v1, v34, s0, -v1
	v_fmac_f32_e32 v1, 0xb2a5705f, v34
	v_add_f32_e32 v1, v5, v1
	v_exp_f32_e32 v1, v1
	v_cvt_i32_f32_e32 v4, v4
	v_cndmask_b32_e32 v0, 0, v0, vcc
	v_mov_b32_e32 v9, 0x7f800000
	v_cmp_ngt_f32_e32 vcc, s5, v18
	v_ldexp_f32 v1, v1, v4
	s_waitcnt vmcnt(13)
	v_mul_f32_e32 v4, 0xbfb8aa3b, v20
	v_rndne_f32_e32 v5, v4
	v_sub_f32_e32 v6, v4, v5
	v_fma_f32 v4, v20, s0, -v4
	v_fmac_f32_e32 v4, 0xb2a5705f, v20
	v_add_f32_e32 v4, v6, v4
	v_exp_f32_e32 v4, v4
	v_cvt_i32_f32_e32 v5, v5
	v_cndmask_b32_e32 v0, v9, v0, vcc
	v_cmp_nlt_f32_e32 vcc, s1, v34
	v_ldexp_f32 v4, v4, v5
	s_waitcnt vmcnt(12)
	v_mul_f32_e32 v5, 0xbfb8aa3b, v19
	v_rndne_f32_e32 v6, v5
	v_sub_f32_e32 v7, v5, v6
	v_fma_f32 v5, v19, s0, -v5
	v_fmac_f32_e32 v5, 0xb2a5705f, v19
	v_add_f32_e32 v5, v7, v5
	v_exp_f32_e32 v5, v5
	v_cvt_i32_f32_e32 v6, v6
	v_cndmask_b32_e32 v1, 0, v1, vcc
	v_cmp_ngt_f32_e32 vcc, s5, v34
	v_ldexp_f32 v5, v5, v6
	s_waitcnt vmcnt(11)
	v_mul_f32_e32 v6, 0xbfb8aa3b, v22
	v_rndne_f32_e32 v7, v6
	v_sub_f32_e32 v8, v6, v7
	v_fma_f32 v6, v22, s0, -v6
	v_fmac_f32_e32 v6, 0xb2a5705f, v22
	v_add_f32_e32 v6, v8, v6
	v_exp_f32_e32 v6, v6
	v_cvt_i32_f32_e32 v7, v7
	v_cndmask_b32_e32 v1, v9, v1, vcc
	v_cmp_nlt_f32_e32 vcc, s1, v20
	v_pk_add_f32 v[0:1], v[0:1], 1.0 op_sel_hi:[1,0]
	v_ldexp_f32 v6, v6, v7
	s_waitcnt vmcnt(10)
	v_mul_f32_e32 v7, 0xbfb8aa3b, v21
	v_rndne_f32_e32 v8, v7
	v_sub_f32_e32 v10, v7, v8
	v_fma_f32 v7, v21, s0, -v7
	v_fmac_f32_e32 v7, 0xb2a5705f, v21
	v_add_f32_e32 v7, v10, v7
	v_exp_f32_e32 v7, v7
	v_cvt_i32_f32_e32 v8, v8
	v_cndmask_b32_e32 v4, 0, v4, vcc
	v_cmp_ngt_f32_e32 vcc, s5, v20
	v_ldexp_f32 v7, v7, v8
	s_waitcnt vmcnt(9)
	v_mul_f32_e32 v8, 0xbfb8aa3b, v24
	v_rndne_f32_e32 v10, v8
	v_sub_f32_e32 v11, v8, v10
	v_fma_f32 v8, v24, s0, -v8
	v_fmac_f32_e32 v8, 0xb2a5705f, v24
	v_add_f32_e32 v8, v11, v8
	v_exp_f32_e32 v8, v8
	v_cvt_i32_f32_e32 v10, v10
	v_cndmask_b32_e32 v4, v9, v4, vcc
	v_cmp_nlt_f32_e32 vcc, s1, v19
	v_ldexp_f32 v8, v8, v10
	s_waitcnt vmcnt(8)
	v_mul_f32_e32 v10, 0xbfb8aa3b, v23
	v_rndne_f32_e32 v11, v10
	v_cndmask_b32_e32 v5, 0, v5, vcc
	v_cmp_ngt_f32_e32 vcc, s5, v19
	v_sub_f32_e32 v12, v10, v11
	v_fma_f32 v10, v23, s0, -v10
	v_cndmask_b32_e32 v5, v9, v5, vcc
	v_cmp_nlt_f32_e32 vcc, s1, v22
	v_fmac_f32_e32 v10, 0xb2a5705f, v23
	v_add_f32_e32 v10, v12, v10
	v_cndmask_b32_e32 v6, 0, v6, vcc
	v_cmp_ngt_f32_e32 vcc, s5, v22
	v_exp_f32_e32 v12, v10
	v_cvt_i32_f32_e32 v11, v11
	v_cndmask_b32_e32 v6, v9, v6, vcc
	v_cmp_nlt_f32_e32 vcc, s1, v21
	v_pk_add_f32 v[4:5], v[4:5], 1.0 op_sel_hi:[1,0]
	s_nop 0
	v_cndmask_b32_e32 v7, 0, v7, vcc
	v_cmp_ngt_f32_e32 vcc, s5, v21
	s_nop 1
	v_cndmask_b32_e32 v7, v9, v7, vcc
	v_cmp_nlt_f32_e32 vcc, s1, v24
	v_pk_add_f32 v[6:7], v[6:7], 1.0 op_sel_hi:[1,0]
	s_nop 0
	v_cndmask_b32_e32 v8, 0, v8, vcc
	v_cmp_ngt_f32_e32 vcc, s5, v24
	s_nop 1
	v_cndmask_b32_e32 v10, v9, v8, vcc
	v_ldexp_f32 v8, v12, v11
	s_waitcnt vmcnt(7)
	v_mul_f32_e32 v11, 0xbfb8aa3b, v26
	v_rndne_f32_e32 v12, v11
	v_sub_f32_e32 v13, v11, v12
	v_fma_f32 v11, v26, s0, -v11
	v_fmac_f32_e32 v11, 0xb2a5705f, v26
	v_add_f32_e32 v11, v13, v11
	v_exp_f32_e32 v13, v11
	v_cvt_i32_f32_e32 v12, v12
	v_cmp_nlt_f32_e32 vcc, s1, v23
	s_nop 1
	v_cndmask_b32_e32 v8, 0, v8, vcc
	v_cmp_ngt_f32_e32 vcc, s5, v23
	s_nop 1
	v_cndmask_b32_e32 v11, v9, v8, vcc
	v_ldexp_f32 v8, v13, v12
	s_waitcnt vmcnt(6)
	v_mul_f32_e32 v12, 0xbfb8aa3b, v25
	v_rndne_f32_e32 v13, v12
	v_sub_f32_e32 v14, v12, v13
	v_fma_f32 v12, v25, s0, -v12
	v_fmac_f32_e32 v12, 0xb2a5705f, v25
	v_add_f32_e32 v12, v14, v12
	v_exp_f32_e32 v12, v12
	v_cvt_i32_f32_e32 v13, v13
	v_cmp_nlt_f32_e32 vcc, s1, v26
	v_pk_add_f32 v[10:11], v[10:11], 1.0 op_sel_hi:[1,0]
	s_nop 0
	v_cndmask_b32_e32 v8, 0, v8, vcc
	v_cmp_ngt_f32_e32 vcc, s5, v26
	s_nop 1
	v_cndmask_b32_e32 v14, v9, v8, vcc
	v_ldexp_f32 v8, v12, v13
	s_waitcnt vmcnt(5)
	v_mul_f32_e32 v12, 0xbfb8aa3b, v28
	v_rndne_f32_e32 v13, v12
	v_sub_f32_e32 v15, v12, v13
	v_fma_f32 v12, v28, s0, -v12
	v_fmac_f32_e32 v12, 0xb2a5705f, v28
	v_add_f32_e32 v12, v15, v12
	v_exp_f32_e32 v12, v12
	v_cvt_i32_f32_e32 v13, v13
	v_cmp_nlt_f32_e32 vcc, s1, v25
	s_nop 1
	v_cndmask_b32_e32 v8, 0, v8, vcc
	v_cmp_ngt_f32_e32 vcc, s5, v25
	s_nop 1
	v_cndmask_b32_e32 v15, v9, v8, vcc
	v_ldexp_f32 v8, v12, v13
	s_waitcnt vmcnt(4)
	v_mul_f32_e32 v12, 0xbfb8aa3b, v27
	v_rndne_f32_e32 v13, v12
	v_sub_f32_e32 v16, v12, v13
	v_fma_f32 v12, v27, s0, -v12
	v_fmac_f32_e32 v12, 0xb2a5705f, v27
	v_add_f32_e32 v12, v16, v12
	v_exp_f32_e32 v12, v12
	v_cvt_i32_f32_e32 v13, v13
	;; [unrolled: 33-line block ×4, first 2 shown]
	v_cmp_nlt_f32_e32 vcc, s1, v32
	v_pk_add_f32 v[12:13], v[12:13], 1.0 op_sel_hi:[1,0]
	v_ldexp_f32 v18, v18, v19
	v_cndmask_b32_e32 v8, 0, v8, vcc
	v_cmp_ngt_f32_e32 vcc, s5, v32
	s_nop 1
	v_cndmask_b32_e32 v8, v9, v8, vcc
	v_cmp_nlt_f32_e32 vcc, s1, v31
	s_nop 1
	v_cndmask_b32_e32 v18, 0, v18, vcc
	v_cmp_ngt_f32_e32 vcc, s5, v31
	s_nop 1
	v_cndmask_b32_e32 v9, v9, v18, vcc
	v_div_scale_f32 v18, s[0:1], v0, v0, 1.0
	v_rcp_f32_e32 v19, v18
	v_pk_add_f32 v[8:9], v[8:9], 1.0 op_sel_hi:[1,0]
	v_fma_f32 v20, -v18, v19, 1.0
	v_fmac_f32_e32 v19, v20, v19
	v_div_scale_f32 v20, vcc, 1.0, v0, 1.0
	v_mul_f32_e32 v21, v20, v19
	v_fma_f32 v22, -v18, v21, v20
	v_fmac_f32_e32 v21, v22, v19
	v_fma_f32 v18, -v18, v21, v20
	v_div_scale_f32 v20, s[0:1], v1, v1, 1.0
	v_rcp_f32_e32 v22, v20
	v_div_fmas_f32 v18, v18, v19, v21
	v_div_fixup_f32 v0, v18, v0, 1.0
	v_fma_f32 v18, -v20, v22, 1.0
	v_fmac_f32_e32 v22, v18, v22
	v_div_scale_f32 v18, vcc, 1.0, v1, 1.0
	v_mul_f32_e32 v19, v18, v22
	v_fma_f32 v21, -v20, v19, v18
	v_fmac_f32_e32 v19, v21, v22
	v_fma_f32 v18, -v20, v19, v18
	v_div_scale_f32 v20, s[0:1], v4, v4, 1.0
	v_rcp_f32_e32 v21, v20
	v_div_fmas_f32 v18, v18, v22, v19
	v_div_fixup_f32 v1, v18, v1, 1.0
	;; [unrolled: 11-line block ×15, first 2 shown]
	v_fma_f32 v18, -v20, v22, 1.0
	v_fmac_f32_e32 v22, v18, v22
	v_div_scale_f32 v18, vcc, 1.0, v9, 1.0
	v_mul_f32_e32 v19, v18, v22
	v_fma_f32 v21, -v20, v19, v18
	v_fmac_f32_e32 v19, v21, v22
	v_fma_f32 v18, -v20, v19, v18
	v_div_fmas_f32 v18, v18, v22, v19
	v_div_fixup_f32 v9, v18, v9, 1.0
.LBB20_6:
	s_waitcnt vmcnt(15)
	v_mov_b32_e32 v18, v0
	s_waitcnt vmcnt(14)
	v_mov_b32_e32 v34, v1
	s_waitcnt vmcnt(13)
	v_mov_b32_e32 v20, v4
	s_waitcnt vmcnt(12)
	v_mov_b32_e32 v19, v5
	s_waitcnt vmcnt(11)
	v_mov_b32_e32 v22, v6
	s_waitcnt vmcnt(10)
	v_mov_b32_e32 v21, v7
	s_waitcnt vmcnt(9)
	v_mov_b32_e32 v24, v10
	s_waitcnt vmcnt(8)
	v_mov_b32_e32 v23, v11
	s_waitcnt vmcnt(7)
	v_mov_b32_e32 v26, v14
	s_waitcnt vmcnt(6)
	v_mov_b32_e32 v25, v15
	s_waitcnt vmcnt(5)
	v_mov_b32_e32 v28, v16
	s_waitcnt vmcnt(4)
	v_mov_b32_e32 v27, v17
	s_waitcnt vmcnt(3)
	v_mov_b32_e32 v30, v12
	s_waitcnt vmcnt(2)
	v_mov_b32_e32 v29, v13
	s_waitcnt vmcnt(1)
	v_mov_b32_e32 v32, v8
	s_waitcnt vmcnt(0)
	v_mov_b32_e32 v31, v9
.LBB20_7:
	s_lshr_b32 s26, s4, 8
	s_cmp_gt_i32 s37, 0
	s_cbranch_scc1 .LBB20_9
; %bb.8:
	s_bitcmp1_b32 s26, 0
	s_mov_b64 s[0:1], 0
	s_cselect_b64 s[40:41], -1, 0
	s_branch .LBB20_10
.LBB20_9:
	s_mov_b64 s[0:1], -1
                                        ; implicit-def: $sgpr40_sgpr41
.LBB20_10:
	v_add_u32_e32 v69, 32, v54
	v_add_u32_e32 v68, 64, v54
	;; [unrolled: 1-line block ×15, first 2 shown]
	s_mov_b32 s33, 0
	s_andn2_b64 vcc, exec, s[0:1]
	v_mbcnt_lo_u32_b32 v51, -1, 0
	s_cbranch_vccnz .LBB20_37
; %bb.11:
	v_mov_b32_e32 v0, s2
	v_mov_b32_e32 v1, s3
	v_lshl_add_u64 v[52:53], v[2:3], 2, v[0:1]
	v_mbcnt_hi_u32_b32 v0, -1, v51
	v_and_b32_e32 v1, 0x60, v0
	v_add_u32_e32 v1, 32, v1
	v_xor_b32_e32 v2, 16, v0
	s_bitcmp1_b32 s26, 0
	v_cmp_lt_i32_e64 s[26:27], v2, v1
	v_mov_b32_e32 v35, 0xff7fffff
	s_waitcnt vmcnt(13)
	v_cmp_o_f32_e32 vcc, v20, v20
	v_cndmask_b32_e64 v2, v0, v2, s[26:27]
	v_lshlrev_b32_e32 v70, 2, v2
	v_xor_b32_e32 v2, 8, v0
	v_cmp_lt_i32_e64 s[26:27], v2, v1
	s_waitcnt vmcnt(12)
	v_cmp_o_f32_e64 s[0:1], v19, v19
	s_waitcnt vmcnt(11)
	v_cmp_o_f32_e64 s[2:3], v22, v22
	v_cndmask_b32_e64 v2, v0, v2, s[26:27]
	v_lshlrev_b32_e32 v71, 2, v2
	v_xor_b32_e32 v2, 4, v0
	v_cmp_lt_i32_e64 s[26:27], v2, v1
	s_waitcnt vmcnt(10)
	v_cmp_o_f32_e64 s[4:5], v21, v21
	s_waitcnt vmcnt(9)
	v_cmp_o_f32_e64 s[6:7], v24, v24
	;; [unrolled: 8-line block ×4, first 2 shown]
	v_cndmask_b32_e64 v0, v0, v2, s[26:27]
	v_cmp_o_f32_e64 s[26:27], v18, v18
	s_waitcnt vmcnt(4)
	v_cmp_o_f32_e64 s[16:17], v27, v27
	s_waitcnt vmcnt(3)
	;; [unrolled: 2-line block ×5, first 2 shown]
	v_cmp_o_f32_e64 s[24:25], v31, v31
	v_mov_b32_e32 v16, 0
	v_cndmask_b32_e64 v18, v35, v18, s[26:27]
	v_cmp_o_f32_e64 s[26:27], v34, v34
	s_cselect_b64 s[40:41], -1, 0
	v_lshlrev_b32_e32 v74, 2, v0
	v_mov_b32_e32 v75, 0xff800000
	v_mov_b32_e32 v0, 0
	;; [unrolled: 1-line block ×17, first 2 shown]
	v_cndmask_b32_e64 v17, v35, v34, s[26:27]
	v_cndmask_b32_e32 v20, v35, v20, vcc
	v_cndmask_b32_e64 v19, v35, v19, s[0:1]
	v_cndmask_b32_e64 v22, v35, v22, s[2:3]
	;; [unrolled: 1-line block ×13, first 2 shown]
	s_branch .LBB20_13
.LBB20_12:                              ;   in Loop: Header=BB20_13 Depth=1
	s_or_b64 exec, exec, s[0:1]
	s_and_b32 s0, s33, 31
	s_waitcnt lgkmcnt(0)
	v_mov_b64_e32 v[48:49], v[14:15]
	s_lshr_b32 s1, s33, 5
	v_mov_b64_e32 v[46:47], v[12:13]
	v_mov_b64_e32 v[44:45], v[10:11]
	v_mov_b64_e32 v[42:43], v[8:9]
	v_mov_b64_e32 v[40:41], v[6:7]
	v_mov_b64_e32 v[38:39], v[4:5]
	v_mov_b64_e32 v[36:37], v[2:3]
	v_mov_b64_e32 v[34:35], v[0:1]
	v_cmp_eq_u32_e32 vcc, s0, v54
	s_add_i32 s33, s33, 1
	s_set_gpr_idx_on s1, gpr_idx(DST)
	v_mov_b32_e32 v34, v76
	s_set_gpr_idx_off
	v_cndmask_b32_e32 v15, v15, v49, vcc
	v_cndmask_b32_e32 v14, v14, v48, vcc
	;; [unrolled: 1-line block ×16, first 2 shown]
	s_cmp_eq_u32 s37, s33
	v_lshl_add_u64 v[52:53], v[52:53], 0, 4
	s_cbranch_scc1 .LBB20_38
.LBB20_13:                              ; =>This Inner Loop Header: Depth=1
	v_cmp_gt_f32_e32 vcc, v17, v18
	s_nop 1
	v_cndmask_b32_e32 v34, v18, v17, vcc
	v_cmp_gt_f32_e64 s[0:1], v20, v34
	v_cndmask_b32_e32 v35, v54, v69, vcc
	s_nop 0
	v_cndmask_b32_e64 v34, v34, v20, s[0:1]
	v_cmp_gt_f32_e32 vcc, v19, v34
	v_cndmask_b32_e64 v35, v35, v68, s[0:1]
	s_nop 0
	v_cndmask_b32_e32 v34, v34, v19, vcc
	v_cndmask_b32_e32 v35, v35, v67, vcc
	v_cmp_gt_f32_e32 vcc, v22, v34
	s_nop 1
	v_cndmask_b32_e32 v34, v34, v22, vcc
	v_cndmask_b32_e32 v35, v35, v66, vcc
	v_cmp_gt_f32_e32 vcc, v21, v34
	;; [unrolled: 4-line block ×12, first 2 shown]
	s_nop 1
	v_cndmask_b32_e32 v76, v34, v31, vcc
	v_cndmask_b32_e32 v34, v35, v55, vcc
	ds_bpermute_b32 v35, v70, v76
	ds_bpermute_b32 v36, v70, v34
	s_waitcnt lgkmcnt(1)
	v_cmp_lt_f32_e64 s[2:3], v76, v35
	v_cmp_nlt_f32_e32 vcc, v76, v35
	s_and_saveexec_b64 s[4:5], vcc
	s_cbranch_execz .LBB20_15
; %bb.14:                               ;   in Loop: Header=BB20_13 Depth=1
	v_cmp_eq_f32_e32 vcc, v76, v35
	s_waitcnt lgkmcnt(0)
	v_cmp_lt_i32_e64 s[0:1], v36, v34
	s_and_b64 s[0:1], vcc, s[0:1]
	s_andn2_b64 s[2:3], s[2:3], exec
	s_and_b64 s[0:1], s[0:1], exec
	s_or_b64 s[2:3], s[2:3], s[0:1]
.LBB20_15:                              ;   in Loop: Header=BB20_13 Depth=1
	s_or_b64 exec, exec, s[4:5]
	s_and_saveexec_b64 s[0:1], s[2:3]
	s_cbranch_execz .LBB20_17
; %bb.16:                               ;   in Loop: Header=BB20_13 Depth=1
	v_mov_b32_e32 v76, v35
	s_waitcnt lgkmcnt(0)
	v_mov_b32_e32 v34, v36
.LBB20_17:                              ;   in Loop: Header=BB20_13 Depth=1
	s_or_b64 exec, exec, s[0:1]
	s_waitcnt lgkmcnt(0)
	ds_bpermute_b32 v36, v71, v76
	ds_bpermute_b32 v35, v71, v34
	s_waitcnt lgkmcnt(1)
	v_cmp_lt_f32_e64 s[2:3], v76, v36
	v_cmp_nlt_f32_e32 vcc, v76, v36
	s_and_saveexec_b64 s[4:5], vcc
	s_cbranch_execz .LBB20_19
; %bb.18:                               ;   in Loop: Header=BB20_13 Depth=1
	v_cmp_eq_f32_e32 vcc, v76, v36
	s_waitcnt lgkmcnt(0)
	v_cmp_lt_i32_e64 s[0:1], v35, v34
	s_and_b64 s[0:1], vcc, s[0:1]
	s_andn2_b64 s[2:3], s[2:3], exec
	s_and_b64 s[0:1], s[0:1], exec
	s_or_b64 s[2:3], s[2:3], s[0:1]
.LBB20_19:                              ;   in Loop: Header=BB20_13 Depth=1
	s_or_b64 exec, exec, s[4:5]
	s_and_saveexec_b64 s[0:1], s[2:3]
	s_cbranch_execz .LBB20_21
; %bb.20:                               ;   in Loop: Header=BB20_13 Depth=1
	v_mov_b32_e32 v76, v36
	s_waitcnt lgkmcnt(0)
	v_mov_b32_e32 v34, v35
.LBB20_21:                              ;   in Loop: Header=BB20_13 Depth=1
	s_or_b64 exec, exec, s[0:1]
	ds_bpermute_b32 v36, v72, v76
	s_waitcnt lgkmcnt(1)
	ds_bpermute_b32 v35, v72, v34
	s_waitcnt lgkmcnt(1)
	v_cmp_lt_f32_e64 s[2:3], v76, v36
	v_cmp_nlt_f32_e32 vcc, v76, v36
	s_and_saveexec_b64 s[4:5], vcc
	s_cbranch_execz .LBB20_23
; %bb.22:                               ;   in Loop: Header=BB20_13 Depth=1
	v_cmp_eq_f32_e32 vcc, v76, v36
	s_waitcnt lgkmcnt(0)
	v_cmp_lt_i32_e64 s[0:1], v35, v34
	s_and_b64 s[0:1], vcc, s[0:1]
	s_andn2_b64 s[2:3], s[2:3], exec
	s_and_b64 s[0:1], s[0:1], exec
	s_or_b64 s[2:3], s[2:3], s[0:1]
.LBB20_23:                              ;   in Loop: Header=BB20_13 Depth=1
	s_or_b64 exec, exec, s[4:5]
	s_and_saveexec_b64 s[0:1], s[2:3]
	s_cbranch_execz .LBB20_25
; %bb.24:                               ;   in Loop: Header=BB20_13 Depth=1
	v_mov_b32_e32 v76, v36
	s_waitcnt lgkmcnt(0)
	v_mov_b32_e32 v34, v35
.LBB20_25:                              ;   in Loop: Header=BB20_13 Depth=1
	s_or_b64 exec, exec, s[0:1]
	ds_bpermute_b32 v36, v73, v76
	s_waitcnt lgkmcnt(1)
	ds_bpermute_b32 v35, v73, v34
	s_waitcnt lgkmcnt(1)
	v_cmp_lt_f32_e64 s[2:3], v76, v36
	v_cmp_nlt_f32_e32 vcc, v76, v36
	s_and_saveexec_b64 s[4:5], vcc
	s_cbranch_execz .LBB20_27
; %bb.26:                               ;   in Loop: Header=BB20_13 Depth=1
	v_cmp_eq_f32_e32 vcc, v76, v36
	s_waitcnt lgkmcnt(0)
	v_cmp_lt_i32_e64 s[0:1], v35, v34
	s_and_b64 s[0:1], vcc, s[0:1]
	s_andn2_b64 s[2:3], s[2:3], exec
	s_and_b64 s[0:1], s[0:1], exec
	s_or_b64 s[2:3], s[2:3], s[0:1]
.LBB20_27:                              ;   in Loop: Header=BB20_13 Depth=1
	s_or_b64 exec, exec, s[4:5]
	s_and_saveexec_b64 s[0:1], s[2:3]
	s_cbranch_execz .LBB20_29
; %bb.28:                               ;   in Loop: Header=BB20_13 Depth=1
	v_mov_b32_e32 v76, v36
	s_waitcnt lgkmcnt(0)
	v_mov_b32_e32 v34, v35
.LBB20_29:                              ;   in Loop: Header=BB20_13 Depth=1
	s_or_b64 exec, exec, s[0:1]
	s_waitcnt lgkmcnt(0)
	ds_bpermute_b32 v35, v74, v76
	ds_bpermute_b32 v36, v74, v34
	s_waitcnt lgkmcnt(1)
	v_cmp_lt_f32_e64 s[2:3], v76, v35
	v_cmp_nlt_f32_e32 vcc, v76, v35
	s_and_saveexec_b64 s[4:5], vcc
	s_cbranch_execz .LBB20_31
; %bb.30:                               ;   in Loop: Header=BB20_13 Depth=1
	v_cmp_eq_f32_e32 vcc, v76, v35
	s_waitcnt lgkmcnt(0)
	v_cmp_lt_i32_e64 s[0:1], v36, v34
	s_and_b64 s[0:1], vcc, s[0:1]
	s_andn2_b64 s[2:3], s[2:3], exec
	s_and_b64 s[0:1], s[0:1], exec
	s_or_b64 s[2:3], s[2:3], s[0:1]
.LBB20_31:                              ;   in Loop: Header=BB20_13 Depth=1
	s_or_b64 exec, exec, s[4:5]
	s_and_saveexec_b64 s[0:1], s[2:3]
	s_cbranch_execz .LBB20_33
; %bb.32:                               ;   in Loop: Header=BB20_13 Depth=1
	v_mov_b32_e32 v76, v35
	s_waitcnt lgkmcnt(0)
	v_mov_b32_e32 v34, v36
.LBB20_33:                              ;   in Loop: Header=BB20_13 Depth=1
	s_or_b64 exec, exec, s[0:1]
	v_and_b32_e32 v35, 31, v34
	v_cmp_eq_u32_e32 vcc, v35, v54
	s_and_saveexec_b64 s[44:45], vcc
	s_cbranch_execz .LBB20_35
; %bb.34:                               ;   in Loop: Header=BB20_13 Depth=1
	v_ashrrev_i32_e32 v35, 31, v34
	v_lshrrev_b32_e32 v35, 27, v35
	v_add_u32_e32 v35, v34, v35
	v_ashrrev_i32_e32 v35, 5, v35
	v_cmp_ne_u32_e64 s[0:1], 14, v35
	v_cmp_ne_u32_e64 s[2:3], 13, v35
	v_cmp_ne_u32_e64 s[4:5], 12, v35
	v_cmp_ne_u32_e64 s[6:7], 11, v35
	v_cmp_ne_u32_e64 s[8:9], 10, v35
	v_cmp_ne_u32_e64 s[10:11], 9, v35
	v_cmp_ne_u32_e64 s[12:13], 8, v35
	v_cmp_ne_u32_e64 s[14:15], 7, v35
	v_cmp_ne_u32_e64 s[16:17], 6, v35
	v_cmp_ne_u32_e64 s[18:19], 5, v35
	v_cmp_ne_u32_e64 s[20:21], 4, v35
	v_cmp_ne_u32_e64 s[22:23], 3, v35
	v_cmp_ne_u32_e64 s[24:25], 2, v35
	v_cmp_ne_u32_e64 s[26:27], 1, v35
	v_cmp_ne_u32_e64 s[28:29], 0, v35
	v_cmp_ne_u32_e64 s[30:31], 15, v35
	v_cndmask_b32_e64 v32, v75, v32, s[0:1]
	v_cndmask_b32_e64 v29, v75, v29, s[2:3]
	v_cndmask_b32_e64 v31, v75, v31, s[30:31]
	v_cndmask_b32_e64 v30, v75, v30, s[4:5]
	v_cndmask_b32_e64 v27, v75, v27, s[6:7]
	v_cndmask_b32_e64 v28, v75, v28, s[8:9]
	v_cndmask_b32_e64 v25, v75, v25, s[10:11]
	v_cndmask_b32_e64 v26, v75, v26, s[12:13]
	v_cndmask_b32_e64 v23, v75, v23, s[14:15]
	v_cndmask_b32_e64 v24, v75, v24, s[16:17]
	v_cndmask_b32_e64 v21, v75, v21, s[18:19]
	v_cndmask_b32_e64 v22, v75, v22, s[20:21]
	v_cndmask_b32_e64 v19, v75, v19, s[22:23]
	v_cndmask_b32_e64 v20, v75, v20, s[24:25]
	v_cndmask_b32_e64 v17, v75, v17, s[26:27]
	v_cndmask_b32_e64 v18, v75, v18, s[28:29]
.LBB20_35:                              ;   in Loop: Header=BB20_13 Depth=1
	s_or_b64 exec, exec, s[44:45]
	s_and_saveexec_b64 s[0:1], vcc
	s_cbranch_execz .LBB20_12
; %bb.36:                               ;   in Loop: Header=BB20_13 Depth=1
	v_add_f32_e32 v35, v16, v76
	v_cndmask_b32_e64 v16, v16, v35, s[40:41]
	global_store_dword v[52:53], v34, off
	s_branch .LBB20_12
.LBB20_37:
	v_mov_b32_e32 v16, 0
	v_mov_b32_e32 v17, v16
	s_waitcnt vmcnt(15)
	v_mov_b32_e32 v18, v16
	s_waitcnt vmcnt(12)
	v_mov_b32_e32 v19, v16
	v_mov_b32_e32 v20, v16
	s_waitcnt vmcnt(10)
	v_mov_b32_e32 v21, v16
	;; [unrolled: 3-line block ×7, first 2 shown]
	v_mov_b64_e32 v[0:1], v[16:17]
	v_mov_b64_e32 v[2:3], v[18:19]
	;; [unrolled: 1-line block ×8, first 2 shown]
.LBB20_38:
	s_and_b64 vcc, exec, s[40:41]
	s_cbranch_vccz .LBB20_40
; %bb.39:
	v_mbcnt_hi_u32_b32 v17, -1, v51
	v_and_b32_e32 v18, 0x60, v17
	v_add_u32_e32 v18, 32, v18
	v_xor_b32_e32 v19, 16, v17
	v_cmp_lt_i32_e32 vcc, v19, v18
	v_xor_b32_e32 v20, 8, v17
	s_nop 0
	v_cndmask_b32_e32 v19, v17, v19, vcc
	v_lshlrev_b32_e32 v19, 2, v19
	ds_bpermute_b32 v19, v19, v16
	v_cmp_lt_i32_e32 vcc, v20, v18
	s_waitcnt lgkmcnt(0)
	v_add_f32_e32 v16, v16, v19
	v_cndmask_b32_e32 v19, v17, v20, vcc
	v_lshlrev_b32_e32 v19, 2, v19
	ds_bpermute_b32 v19, v19, v16
	v_xor_b32_e32 v20, 4, v17
	v_cmp_lt_i32_e32 vcc, v20, v18
	s_waitcnt lgkmcnt(0)
	v_add_f32_e32 v16, v16, v19
	v_cndmask_b32_e32 v19, v17, v20, vcc
	v_lshlrev_b32_e32 v19, 2, v19
	ds_bpermute_b32 v19, v19, v16
	v_xor_b32_e32 v20, 2, v17
	;; [unrolled: 7-line block ×3, first 2 shown]
	v_cmp_lt_i32_e32 vcc, v20, v18
	v_max_f32_e64 v18, s38, s38
	s_waitcnt lgkmcnt(0)
	v_add_f32_e32 v16, v16, v19
	v_cndmask_b32_e32 v17, v17, v20, vcc
	v_lshlrev_b32_e32 v17, 2, v17
	ds_bpermute_b32 v17, v17, v16
	s_waitcnt lgkmcnt(0)
	v_add_f32_e32 v16, v16, v17
	v_max_f32_e32 v16, v16, v18
	v_div_scale_f32 v17, s[0:1], v16, v16, 1.0
	v_rcp_f32_e32 v18, v17
	v_div_scale_f32 v19, vcc, 1.0, v16, 1.0
	v_fma_f32 v20, -v17, v18, 1.0
	v_fmac_f32_e32 v18, v20, v18
	v_mul_f32_e32 v20, v19, v18
	v_fma_f32 v21, -v17, v20, v19
	v_fmac_f32_e32 v20, v21, v18
	v_fma_f32 v17, -v17, v20, v19
	v_div_fmas_f32 v17, v17, v18, v20
	v_div_fixup_f32 v16, v17, v16, 1.0
	v_pk_mul_f32 v[14:15], v[16:17], v[14:15] op_sel_hi:[0,1]
	v_pk_mul_f32 v[12:13], v[16:17], v[12:13] op_sel_hi:[0,1]
	;; [unrolled: 1-line block ×8, first 2 shown]
.LBB20_40:
	s_andn2_b64 vcc, exec, s[34:35]
	v_cmp_gt_i32_e64 s[28:29], s37, v69
	v_cmp_gt_i32_e64 s[26:27], s37, v68
	;; [unrolled: 1-line block ×16, first 2 shown]
	s_cbranch_vccnz .LBB20_42
; %bb.41:
	v_max_f32_e32 v16, v0, v0
	v_max_f32_e32 v16, 0xff800000, v16
	v_mov_b32_e32 v17, 0xff800000
	v_cndmask_b32_e64 v16, v17, v16, s[30:31]
	v_max_f32_e32 v17, v1, v1
	v_max_f32_e32 v17, v16, v17
	v_cndmask_b32_e64 v16, v16, v17, s[28:29]
	v_max_f32_e32 v17, v2, v2
	v_max_f32_e32 v17, v16, v17
	;; [unrolled: 3-line block ×5, first 2 shown]
	v_max_f32_e32 v17, v17, v18
	v_cndmask_b32_e64 v16, v16, v17, s[20:21]
	v_max_f32_e32 v17, v16, v16
	v_max_f32_e32 v18, v6, v6
	v_max_f32_e32 v17, v17, v18
	v_cndmask_b32_e64 v16, v16, v17, s[18:19]
	v_max_f32_e32 v17, v16, v16
	v_max_f32_e32 v18, v7, v7
	;; [unrolled: 4-line block ×10, first 2 shown]
	v_max_f32_e32 v17, v17, v18
	v_cndmask_b32_e64 v16, v16, v17, s[0:1]
	v_mbcnt_hi_u32_b32 v17, -1, v51
	v_and_b32_e32 v18, 0x60, v17
	v_add_u32_e32 v18, 32, v18
	v_xor_b32_e32 v19, 16, v17
	v_cmp_lt_i32_e32 vcc, v19, v18
	s_mov_b32 s35, 0x3fb8aa3b
	s_mov_b32 s33, 0xc2ce8ed0
	v_cndmask_b32_e32 v19, v17, v19, vcc
	v_lshlrev_b32_e32 v19, 2, v19
	ds_bpermute_b32 v20, v19, v16
	v_max_f32_e32 v16, v16, v16
	s_mov_b32 s34, 0x42b17218
	s_waitcnt lgkmcnt(0)
	v_max_f32_e32 v20, v20, v20
	v_max_f32_e32 v16, v16, v20
	v_xor_b32_e32 v20, 8, v17
	v_cmp_lt_i32_e32 vcc, v20, v18
	s_nop 1
	v_cndmask_b32_e32 v20, v17, v20, vcc
	v_lshlrev_b32_e32 v20, 2, v20
	ds_bpermute_b32 v21, v20, v16
	s_waitcnt lgkmcnt(0)
	v_max_f32_e32 v21, v21, v21
	v_max_f32_e32 v16, v16, v21
	v_xor_b32_e32 v21, 4, v17
	v_cmp_lt_i32_e32 vcc, v21, v18
	s_nop 1
	v_cndmask_b32_e32 v21, v17, v21, vcc
	v_lshlrev_b32_e32 v21, 2, v21
	ds_bpermute_b32 v22, v21, v16
	;; [unrolled: 9-line block ×4, first 2 shown]
	s_waitcnt lgkmcnt(0)
	v_max_f32_e32 v18, v18, v18
	v_max_f32_e32 v16, v16, v18
	v_sub_f32_e32 v0, v0, v16
	v_mul_f32_e32 v18, 0x3fb8aa3b, v0
	v_fma_f32 v23, v0, s35, -v18
	v_rndne_f32_e32 v24, v18
	v_fmac_f32_e32 v23, 0x32a5705f, v0
	v_sub_f32_e32 v18, v18, v24
	v_sub_f32_e32 v1, v1, v16
	v_add_f32_e32 v18, v18, v23
	v_cvt_i32_f32_e32 v23, v24
	v_mul_f32_e32 v24, 0x3fb8aa3b, v1
	v_fma_f32 v25, v1, s35, -v24
	v_rndne_f32_e32 v26, v24
	v_exp_f32_e32 v18, v18
	v_fmac_f32_e32 v25, 0x32a5705f, v1
	v_sub_f32_e32 v24, v24, v26
	v_add_f32_e32 v24, v24, v25
	v_exp_f32_e32 v24, v24
	v_cvt_i32_f32_e32 v25, v26
	v_ldexp_f32 v18, v18, v23
	v_cmp_ngt_f32_e32 vcc, s33, v0
	v_mov_b32_e32 v23, 0x7f800000
	v_sub_f32_e32 v2, v2, v16
	v_cndmask_b32_e32 v18, 0, v18, vcc
	v_cmp_nlt_f32_e32 vcc, s34, v0
	v_sub_f32_e32 v3, v3, v16
	v_sub_f32_e32 v4, v4, v16
	v_cndmask_b32_e32 v0, v23, v18, vcc
	v_ldexp_f32 v18, v24, v25
	v_mul_f32_e32 v24, 0x3fb8aa3b, v2
	v_fma_f32 v25, v2, s35, -v24
	v_rndne_f32_e32 v26, v24
	v_fmac_f32_e32 v25, 0x32a5705f, v2
	v_sub_f32_e32 v24, v24, v26
	v_add_f32_e32 v24, v24, v25
	v_exp_f32_e32 v24, v24
	v_cvt_i32_f32_e32 v25, v26
	v_cmp_ngt_f32_e32 vcc, s33, v1
	v_cndmask_b32_e64 v0, 0, v0, s[30:31]
	v_sub_f32_e32 v5, v5, v16
	v_ldexp_f32 v24, v24, v25
	v_mul_f32_e32 v25, 0x3fb8aa3b, v3
	v_fma_f32 v26, v3, s35, -v25
	v_rndne_f32_e32 v27, v25
	v_fmac_f32_e32 v26, 0x32a5705f, v3
	v_sub_f32_e32 v25, v25, v27
	v_cndmask_b32_e32 v18, 0, v18, vcc
	v_cmp_nlt_f32_e32 vcc, s34, v1
	v_add_f32_e32 v25, v25, v26
	v_exp_f32_e32 v25, v25
	v_cndmask_b32_e32 v1, v23, v18, vcc
	v_cmp_ngt_f32_e32 vcc, s33, v2
	v_cvt_i32_f32_e32 v26, v27
	v_add_f32_e32 v18, v1, v0
	v_cndmask_b32_e32 v24, 0, v24, vcc
	v_cmp_nlt_f32_e32 vcc, s34, v2
	v_cndmask_b32_e64 v18, v0, v18, s[28:29]
	v_sub_f32_e32 v6, v6, v16
	v_cndmask_b32_e32 v2, v23, v24, vcc
	v_add_f32_e32 v24, v18, v2
	v_cndmask_b32_e64 v18, v18, v24, s[26:27]
	v_ldexp_f32 v24, v25, v26
	v_mul_f32_e32 v25, 0x3fb8aa3b, v4
	v_fma_f32 v26, v4, s35, -v25
	v_rndne_f32_e32 v27, v25
	v_fmac_f32_e32 v26, 0x32a5705f, v4
	v_sub_f32_e32 v25, v25, v27
	v_add_f32_e32 v25, v25, v26
	v_cmp_ngt_f32_e32 vcc, s33, v3
	v_exp_f32_e32 v25, v25
	v_cvt_i32_f32_e32 v26, v27
	v_cndmask_b32_e32 v24, 0, v24, vcc
	v_cmp_nlt_f32_e32 vcc, s34, v3
	v_sub_f32_e32 v7, v7, v16
	v_sub_f32_e32 v8, v8, v16
	v_cndmask_b32_e32 v3, v23, v24, vcc
	v_add_f32_e32 v24, v18, v3
	v_cndmask_b32_e64 v18, v18, v24, s[24:25]
	v_ldexp_f32 v24, v25, v26
	v_mul_f32_e32 v25, 0x3fb8aa3b, v5
	v_fma_f32 v26, v5, s35, -v25
	v_rndne_f32_e32 v27, v25
	v_fmac_f32_e32 v26, 0x32a5705f, v5
	v_sub_f32_e32 v25, v25, v27
	v_add_f32_e32 v25, v25, v26
	v_cmp_ngt_f32_e32 vcc, s33, v4
	v_exp_f32_e32 v25, v25
	v_cvt_i32_f32_e32 v26, v27
	v_cndmask_b32_e32 v24, 0, v24, vcc
	v_cmp_nlt_f32_e32 vcc, s34, v4
	v_sub_f32_e32 v9, v9, v16
	;; [unrolled: 17-line block ×5, first 2 shown]
	v_mul_f32_e32 v16, 0x3fb8aa3b, v15
	v_cndmask_b32_e32 v7, v23, v24, vcc
	v_add_f32_e32 v24, v18, v7
	v_cndmask_b32_e64 v18, v18, v24, s[16:17]
	v_ldexp_f32 v24, v25, v26
	v_mul_f32_e32 v25, 0x3fb8aa3b, v9
	v_fma_f32 v26, v9, s35, -v25
	v_rndne_f32_e32 v27, v25
	v_fmac_f32_e32 v26, 0x32a5705f, v9
	v_sub_f32_e32 v25, v25, v27
	v_add_f32_e32 v25, v25, v26
	v_cmp_ngt_f32_e32 vcc, s33, v8
	v_exp_f32_e32 v25, v25
	v_cvt_i32_f32_e32 v26, v27
	v_cndmask_b32_e32 v24, 0, v24, vcc
	v_cmp_nlt_f32_e32 vcc, s34, v8
	v_cndmask_b32_e64 v1, 0, v1, s[28:29]
	v_cndmask_b32_e64 v2, 0, v2, s[26:27]
	v_cndmask_b32_e32 v8, v23, v24, vcc
	v_add_f32_e32 v24, v18, v8
	v_cndmask_b32_e64 v18, v18, v24, s[14:15]
	v_ldexp_f32 v24, v25, v26
	v_mul_f32_e32 v25, 0x3fb8aa3b, v10
	v_fma_f32 v26, v10, s35, -v25
	v_rndne_f32_e32 v27, v25
	v_fmac_f32_e32 v26, 0x32a5705f, v10
	v_sub_f32_e32 v25, v25, v27
	v_add_f32_e32 v25, v25, v26
	v_cmp_ngt_f32_e32 vcc, s33, v9
	v_exp_f32_e32 v25, v25
	v_cvt_i32_f32_e32 v26, v27
	v_cndmask_b32_e32 v24, 0, v24, vcc
	v_cmp_nlt_f32_e32 vcc, s34, v9
	v_cndmask_b32_e64 v3, 0, v3, s[24:25]
	v_cndmask_b32_e64 v4, 0, v4, s[22:23]
	;; [unrolled: 17-line block ×6, first 2 shown]
	v_cndmask_b32_e32 v13, v23, v24, vcc
	v_add_f32_e32 v24, v18, v13
	v_cndmask_b32_e64 v18, v18, v24, s[4:5]
	v_ldexp_f32 v24, v25, v26
	v_fma_f32 v25, v15, s35, -v16
	v_rndne_f32_e32 v26, v16
	v_fmac_f32_e32 v25, 0x32a5705f, v15
	v_sub_f32_e32 v16, v16, v26
	v_add_f32_e32 v16, v16, v25
	v_exp_f32_e32 v16, v16
	v_cvt_i32_f32_e32 v25, v26
	v_cmp_ngt_f32_e32 vcc, s33, v14
	v_cndmask_b32_e64 v13, 0, v13, s[4:5]
	v_ldexp_f32 v16, v16, v25
	v_cndmask_b32_e32 v24, 0, v24, vcc
	v_cmp_nlt_f32_e32 vcc, s34, v14
	s_nop 1
	v_cndmask_b32_e32 v14, v23, v24, vcc
	v_cmp_ngt_f32_e32 vcc, s33, v15
	v_add_f32_e32 v24, v18, v14
	v_cndmask_b32_e64 v18, v18, v24, s[2:3]
	v_cndmask_b32_e32 v16, 0, v16, vcc
	v_cmp_nlt_f32_e32 vcc, s34, v15
	v_cndmask_b32_e64 v14, 0, v14, s[2:3]
	s_nop 0
	v_cndmask_b32_e32 v15, v23, v16, vcc
	v_add_f32_e32 v16, v18, v15
	v_cndmask_b32_e64 v16, v18, v16, s[0:1]
	ds_bpermute_b32 v18, v19, v16
	v_cndmask_b32_e64 v15, 0, v15, s[0:1]
	s_waitcnt lgkmcnt(0)
	v_add_f32_e32 v16, v16, v18
	ds_bpermute_b32 v18, v20, v16
	s_waitcnt lgkmcnt(0)
	v_add_f32_e32 v16, v16, v18
	ds_bpermute_b32 v18, v21, v16
	;; [unrolled: 3-line block ×4, first 2 shown]
	s_waitcnt lgkmcnt(0)
	v_add_f32_e32 v16, v16, v17
	v_div_scale_f32 v17, s[34:35], v16, v16, 1.0
	v_rcp_f32_e32 v18, v17
	s_nop 0
	v_fma_f32 v19, -v17, v18, 1.0
	v_fmac_f32_e32 v18, v19, v18
	v_div_scale_f32 v19, vcc, 1.0, v16, 1.0
	v_mul_f32_e32 v20, v19, v18
	v_fma_f32 v21, -v17, v20, v19
	v_fmac_f32_e32 v20, v21, v18
	v_fma_f32 v17, -v17, v20, v19
	v_div_fmas_f32 v17, v17, v18, v20
	v_div_fixup_f32 v16, v17, v16, 1.0
	v_mul_f32_e32 v17, v0, v16
	v_cndmask_b32_e64 v0, v0, v17, s[30:31]
	v_mul_f32_e32 v17, v1, v16
	v_cndmask_b32_e64 v1, v1, v17, s[28:29]
	;; [unrolled: 2-line block ×14, first 2 shown]
	v_mul_f32_e32 v17, v14, v16
	v_mul_f32_e32 v16, v15, v16
	v_cndmask_b32_e64 v14, v14, v17, s[2:3]
	v_cndmask_b32_e64 v15, v15, v16, s[0:1]
.LBB20_42:
	v_mul_lo_u32 v18, v33, s37
	v_mov_b32_e32 v16, s42
	v_mov_b32_e32 v17, s43
	v_ashrrev_i32_e32 v19, 31, v18
	v_lshl_add_u64 v[16:17], v[18:19], 2, v[16:17]
	v_cmp_gt_i32_e32 vcc, s37, v54
	s_and_saveexec_b64 s[0:1], vcc
	s_cbranch_execnz .LBB20_60
; %bb.43:
	s_or_b64 exec, exec, s[0:1]
	v_cmp_gt_i32_e32 vcc, s37, v69
	s_and_saveexec_b64 s[0:1], vcc
	s_cbranch_execnz .LBB20_61
.LBB20_44:
	s_or_b64 exec, exec, s[0:1]
	v_cmp_gt_i32_e32 vcc, s37, v68
	s_and_saveexec_b64 s[0:1], vcc
	s_cbranch_execnz .LBB20_62
.LBB20_45:
	s_or_b64 exec, exec, s[0:1]
	v_cmp_gt_i32_e32 vcc, s37, v67
	s_and_saveexec_b64 s[0:1], vcc
	s_cbranch_execnz .LBB20_63
.LBB20_46:
	s_or_b64 exec, exec, s[0:1]
	v_cmp_gt_i32_e32 vcc, s37, v66
	s_and_saveexec_b64 s[0:1], vcc
	s_cbranch_execnz .LBB20_64
.LBB20_47:
	s_or_b64 exec, exec, s[0:1]
	v_cmp_gt_i32_e32 vcc, s37, v65
	s_and_saveexec_b64 s[0:1], vcc
	s_cbranch_execnz .LBB20_65
.LBB20_48:
	s_or_b64 exec, exec, s[0:1]
	v_cmp_gt_i32_e32 vcc, s37, v64
	s_and_saveexec_b64 s[0:1], vcc
	s_cbranch_execnz .LBB20_66
.LBB20_49:
	s_or_b64 exec, exec, s[0:1]
	v_cmp_gt_i32_e32 vcc, s37, v63
	s_and_saveexec_b64 s[0:1], vcc
	s_cbranch_execnz .LBB20_67
.LBB20_50:
	s_or_b64 exec, exec, s[0:1]
	v_cmp_gt_i32_e32 vcc, s37, v62
	s_and_saveexec_b64 s[0:1], vcc
	s_cbranch_execnz .LBB20_68
.LBB20_51:
	s_or_b64 exec, exec, s[0:1]
	v_cmp_gt_i32_e32 vcc, s37, v61
	s_and_saveexec_b64 s[0:1], vcc
	s_cbranch_execnz .LBB20_69
.LBB20_52:
	s_or_b64 exec, exec, s[0:1]
	v_cmp_gt_i32_e32 vcc, s37, v60
	s_and_saveexec_b64 s[0:1], vcc
	s_cbranch_execnz .LBB20_70
.LBB20_53:
	s_or_b64 exec, exec, s[0:1]
	v_cmp_gt_i32_e32 vcc, s37, v59
	s_and_saveexec_b64 s[0:1], vcc
	s_cbranch_execnz .LBB20_71
.LBB20_54:
	s_or_b64 exec, exec, s[0:1]
	v_cmp_gt_i32_e32 vcc, s37, v58
	s_and_saveexec_b64 s[0:1], vcc
	s_cbranch_execnz .LBB20_72
.LBB20_55:
	s_or_b64 exec, exec, s[0:1]
	v_cmp_gt_i32_e32 vcc, s37, v57
	s_and_saveexec_b64 s[0:1], vcc
	s_cbranch_execnz .LBB20_73
.LBB20_56:
	s_or_b64 exec, exec, s[0:1]
	v_cmp_gt_i32_e32 vcc, s37, v56
	s_and_saveexec_b64 s[0:1], vcc
	s_cbranch_execnz .LBB20_74
.LBB20_57:
	s_or_b64 exec, exec, s[0:1]
	v_cmp_gt_i32_e32 vcc, s37, v55
	s_and_b64 exec, exec, vcc
	s_cbranch_execz .LBB20_59
.LBB20_58:
	v_mov_b32_e32 v51, 0
	v_lshl_add_u64 v[0:1], v[16:17], 0, v[50:51]
	v_mul_f32_e32 v2, s39, v15
	global_store_dword v[0:1], v2, off offset:1920
.LBB20_59:
	s_endpgm
.LBB20_60:
	v_mov_b32_e32 v51, 0
	v_lshl_add_u64 v[18:19], v[16:17], 0, v[50:51]
	v_mul_f32_e32 v0, s39, v0
	global_store_dword v[18:19], v0, off
	s_or_b64 exec, exec, s[0:1]
	v_cmp_gt_i32_e32 vcc, s37, v69
	s_and_saveexec_b64 s[0:1], vcc
	s_cbranch_execz .LBB20_44
.LBB20_61:
	v_mov_b32_e32 v51, 0
	v_lshl_add_u64 v[18:19], v[16:17], 0, v[50:51]
	v_mul_f32_e32 v0, s39, v1
	global_store_dword v[18:19], v0, off offset:128
	s_or_b64 exec, exec, s[0:1]
	v_cmp_gt_i32_e32 vcc, s37, v68
	s_and_saveexec_b64 s[0:1], vcc
	s_cbranch_execz .LBB20_45
.LBB20_62:
	v_mov_b32_e32 v51, 0
	v_lshl_add_u64 v[0:1], v[16:17], 0, v[50:51]
	v_mul_f32_e32 v2, s39, v2
	global_store_dword v[0:1], v2, off offset:256
	s_or_b64 exec, exec, s[0:1]
	v_cmp_gt_i32_e32 vcc, s37, v67
	s_and_saveexec_b64 s[0:1], vcc
	s_cbranch_execz .LBB20_46
.LBB20_63:
	v_mov_b32_e32 v51, 0
	v_lshl_add_u64 v[0:1], v[16:17], 0, v[50:51]
	v_mul_f32_e32 v2, s39, v3
	global_store_dword v[0:1], v2, off offset:384
	s_or_b64 exec, exec, s[0:1]
	v_cmp_gt_i32_e32 vcc, s37, v66
	s_and_saveexec_b64 s[0:1], vcc
	s_cbranch_execz .LBB20_47
.LBB20_64:
	v_mov_b32_e32 v51, 0
	v_lshl_add_u64 v[0:1], v[16:17], 0, v[50:51]
	v_mul_f32_e32 v2, s39, v4
	global_store_dword v[0:1], v2, off offset:512
	s_or_b64 exec, exec, s[0:1]
	v_cmp_gt_i32_e32 vcc, s37, v65
	s_and_saveexec_b64 s[0:1], vcc
	s_cbranch_execz .LBB20_48
.LBB20_65:
	v_mov_b32_e32 v51, 0
	v_lshl_add_u64 v[0:1], v[16:17], 0, v[50:51]
	v_mul_f32_e32 v2, s39, v5
	global_store_dword v[0:1], v2, off offset:640
	s_or_b64 exec, exec, s[0:1]
	v_cmp_gt_i32_e32 vcc, s37, v64
	s_and_saveexec_b64 s[0:1], vcc
	s_cbranch_execz .LBB20_49
.LBB20_66:
	v_mov_b32_e32 v51, 0
	v_lshl_add_u64 v[0:1], v[16:17], 0, v[50:51]
	v_mul_f32_e32 v2, s39, v6
	global_store_dword v[0:1], v2, off offset:768
	s_or_b64 exec, exec, s[0:1]
	v_cmp_gt_i32_e32 vcc, s37, v63
	s_and_saveexec_b64 s[0:1], vcc
	s_cbranch_execz .LBB20_50
.LBB20_67:
	v_mov_b32_e32 v51, 0
	v_lshl_add_u64 v[0:1], v[16:17], 0, v[50:51]
	v_mul_f32_e32 v2, s39, v7
	global_store_dword v[0:1], v2, off offset:896
	s_or_b64 exec, exec, s[0:1]
	v_cmp_gt_i32_e32 vcc, s37, v62
	s_and_saveexec_b64 s[0:1], vcc
	s_cbranch_execz .LBB20_51
.LBB20_68:
	v_mov_b32_e32 v51, 0
	v_lshl_add_u64 v[0:1], v[16:17], 0, v[50:51]
	v_mul_f32_e32 v2, s39, v8
	global_store_dword v[0:1], v2, off offset:1024
	s_or_b64 exec, exec, s[0:1]
	v_cmp_gt_i32_e32 vcc, s37, v61
	s_and_saveexec_b64 s[0:1], vcc
	s_cbranch_execz .LBB20_52
.LBB20_69:
	v_mov_b32_e32 v51, 0
	v_lshl_add_u64 v[0:1], v[16:17], 0, v[50:51]
	v_mul_f32_e32 v2, s39, v9
	global_store_dword v[0:1], v2, off offset:1152
	s_or_b64 exec, exec, s[0:1]
	v_cmp_gt_i32_e32 vcc, s37, v60
	s_and_saveexec_b64 s[0:1], vcc
	s_cbranch_execz .LBB20_53
.LBB20_70:
	v_mov_b32_e32 v51, 0
	v_lshl_add_u64 v[0:1], v[16:17], 0, v[50:51]
	v_mul_f32_e32 v2, s39, v10
	global_store_dword v[0:1], v2, off offset:1280
	s_or_b64 exec, exec, s[0:1]
	v_cmp_gt_i32_e32 vcc, s37, v59
	s_and_saveexec_b64 s[0:1], vcc
	s_cbranch_execz .LBB20_54
.LBB20_71:
	v_mov_b32_e32 v51, 0
	v_lshl_add_u64 v[0:1], v[16:17], 0, v[50:51]
	v_mul_f32_e32 v2, s39, v11
	global_store_dword v[0:1], v2, off offset:1408
	s_or_b64 exec, exec, s[0:1]
	v_cmp_gt_i32_e32 vcc, s37, v58
	s_and_saveexec_b64 s[0:1], vcc
	s_cbranch_execz .LBB20_55
.LBB20_72:
	v_mov_b32_e32 v51, 0
	v_lshl_add_u64 v[0:1], v[16:17], 0, v[50:51]
	v_mul_f32_e32 v2, s39, v12
	global_store_dword v[0:1], v2, off offset:1536
	s_or_b64 exec, exec, s[0:1]
	v_cmp_gt_i32_e32 vcc, s37, v57
	s_and_saveexec_b64 s[0:1], vcc
	s_cbranch_execz .LBB20_56
.LBB20_73:
	v_mov_b32_e32 v51, 0
	v_lshl_add_u64 v[0:1], v[16:17], 0, v[50:51]
	v_mul_f32_e32 v2, s39, v13
	global_store_dword v[0:1], v2, off offset:1664
	s_or_b64 exec, exec, s[0:1]
	v_cmp_gt_i32_e32 vcc, s37, v56
	s_and_saveexec_b64 s[0:1], vcc
	s_cbranch_execz .LBB20_57
.LBB20_74:
	v_mov_b32_e32 v51, 0
	v_lshl_add_u64 v[0:1], v[16:17], 0, v[50:51]
	v_mul_f32_e32 v2, s39, v14
	global_store_dword v[0:1], v2, off offset:1792
	s_or_b64 exec, exec, s[0:1]
	v_cmp_gt_i32_e32 vcc, s37, v55
	s_and_b64 exec, exec, vcc
	s_cbranch_execnz .LBB20_58
	s_branch .LBB20_59
	.section	.rodata,"a",@progbits
	.p2align	6, 0x0
	.amdhsa_kernel _Z13topk_moe_cudaILi512ELb0EEvPKfPfPiS2_iiff15topk_moe_config
		.amdhsa_group_segment_fixed_size 0
		.amdhsa_private_segment_fixed_size 0
		.amdhsa_kernarg_size 312
		.amdhsa_user_sgpr_count 2
		.amdhsa_user_sgpr_dispatch_ptr 0
		.amdhsa_user_sgpr_queue_ptr 0
		.amdhsa_user_sgpr_kernarg_segment_ptr 1
		.amdhsa_user_sgpr_dispatch_id 0
		.amdhsa_user_sgpr_kernarg_preload_length 0
		.amdhsa_user_sgpr_kernarg_preload_offset 0
		.amdhsa_user_sgpr_private_segment_size 0
		.amdhsa_uses_dynamic_stack 0
		.amdhsa_enable_private_segment 0
		.amdhsa_system_sgpr_workgroup_id_x 1
		.amdhsa_system_sgpr_workgroup_id_y 0
		.amdhsa_system_sgpr_workgroup_id_z 0
		.amdhsa_system_sgpr_workgroup_info 0
		.amdhsa_system_vgpr_workitem_id 1
		.amdhsa_next_free_vgpr 77
		.amdhsa_next_free_sgpr 46
		.amdhsa_accum_offset 80
		.amdhsa_reserve_vcc 1
		.amdhsa_float_round_mode_32 0
		.amdhsa_float_round_mode_16_64 0
		.amdhsa_float_denorm_mode_32 3
		.amdhsa_float_denorm_mode_16_64 3
		.amdhsa_dx10_clamp 1
		.amdhsa_ieee_mode 1
		.amdhsa_fp16_overflow 0
		.amdhsa_tg_split 0
		.amdhsa_exception_fp_ieee_invalid_op 0
		.amdhsa_exception_fp_denorm_src 0
		.amdhsa_exception_fp_ieee_div_zero 0
		.amdhsa_exception_fp_ieee_overflow 0
		.amdhsa_exception_fp_ieee_underflow 0
		.amdhsa_exception_fp_ieee_inexact 0
		.amdhsa_exception_int_div_zero 0
	.end_amdhsa_kernel
	.section	.text._Z13topk_moe_cudaILi512ELb0EEvPKfPfPiS2_iiff15topk_moe_config,"axG",@progbits,_Z13topk_moe_cudaILi512ELb0EEvPKfPfPiS2_iiff15topk_moe_config,comdat
.Lfunc_end20:
	.size	_Z13topk_moe_cudaILi512ELb0EEvPKfPfPiS2_iiff15topk_moe_config, .Lfunc_end20-_Z13topk_moe_cudaILi512ELb0EEvPKfPfPiS2_iiff15topk_moe_config
                                        ; -- End function
	.set _Z13topk_moe_cudaILi512ELb0EEvPKfPfPiS2_iiff15topk_moe_config.num_vgpr, 77
	.set _Z13topk_moe_cudaILi512ELb0EEvPKfPfPiS2_iiff15topk_moe_config.num_agpr, 0
	.set _Z13topk_moe_cudaILi512ELb0EEvPKfPfPiS2_iiff15topk_moe_config.numbered_sgpr, 46
	.set _Z13topk_moe_cudaILi512ELb0EEvPKfPfPiS2_iiff15topk_moe_config.num_named_barrier, 0
	.set _Z13topk_moe_cudaILi512ELb0EEvPKfPfPiS2_iiff15topk_moe_config.private_seg_size, 0
	.set _Z13topk_moe_cudaILi512ELb0EEvPKfPfPiS2_iiff15topk_moe_config.uses_vcc, 1
	.set _Z13topk_moe_cudaILi512ELb0EEvPKfPfPiS2_iiff15topk_moe_config.uses_flat_scratch, 0
	.set _Z13topk_moe_cudaILi512ELb0EEvPKfPfPiS2_iiff15topk_moe_config.has_dyn_sized_stack, 0
	.set _Z13topk_moe_cudaILi512ELb0EEvPKfPfPiS2_iiff15topk_moe_config.has_recursion, 0
	.set _Z13topk_moe_cudaILi512ELb0EEvPKfPfPiS2_iiff15topk_moe_config.has_indirect_call, 0
	.section	.AMDGPU.csdata,"",@progbits
; Kernel info:
; codeLenInByte = 10684
; TotalNumSgprs: 52
; NumVgprs: 77
; NumAgprs: 0
; TotalNumVgprs: 77
; ScratchSize: 0
; MemoryBound: 0
; FloatMode: 240
; IeeeMode: 1
; LDSByteSize: 0 bytes/workgroup (compile time only)
; SGPRBlocks: 6
; VGPRBlocks: 9
; NumSGPRsForWavesPerEU: 52
; NumVGPRsForWavesPerEU: 77
; AccumOffset: 80
; Occupancy: 6
; WaveLimiterHint : 1
; COMPUTE_PGM_RSRC2:SCRATCH_EN: 0
; COMPUTE_PGM_RSRC2:USER_SGPR: 2
; COMPUTE_PGM_RSRC2:TRAP_HANDLER: 0
; COMPUTE_PGM_RSRC2:TGID_X_EN: 1
; COMPUTE_PGM_RSRC2:TGID_Y_EN: 0
; COMPUTE_PGM_RSRC2:TGID_Z_EN: 0
; COMPUTE_PGM_RSRC2:TIDIG_COMP_CNT: 1
; COMPUTE_PGM_RSRC3_GFX90A:ACCUM_OFFSET: 19
; COMPUTE_PGM_RSRC3_GFX90A:TG_SPLIT: 0
	.section	.text._Z13topk_moe_cudaILi576ELb0EEvPKfPfPiS2_iiff15topk_moe_config,"axG",@progbits,_Z13topk_moe_cudaILi576ELb0EEvPKfPfPiS2_iiff15topk_moe_config,comdat
	.protected	_Z13topk_moe_cudaILi576ELb0EEvPKfPfPiS2_iiff15topk_moe_config ; -- Begin function _Z13topk_moe_cudaILi576ELb0EEvPKfPfPiS2_iiff15topk_moe_config
	.globl	_Z13topk_moe_cudaILi576ELb0EEvPKfPfPiS2_iiff15topk_moe_config
	.p2align	8
	.type	_Z13topk_moe_cudaILi576ELb0EEvPKfPfPiS2_iiff15topk_moe_config,@function
_Z13topk_moe_cudaILi576ELb0EEvPKfPfPiS2_iiff15topk_moe_config: ; @_Z13topk_moe_cudaILi576ELb0EEvPKfPfPiS2_iiff15topk_moe_config
; %bb.0:
	s_load_dword s3, s[0:1], 0x44
	s_load_dwordx4 s[40:43], s[0:1], 0x20
	v_bfe_u32 v1, v0, 10, 10
	s_waitcnt lgkmcnt(0)
	s_lshr_b32 s3, s3, 16
	s_mul_i32 s2, s2, s3
	v_add_u32_e32 v74, s2, v1
	v_cmp_gt_i32_e32 vcc, s40, v74
	s_and_saveexec_b64 s[2:3], vcc
	s_cbranch_execz .LBB21_61
; %bb.1:
	s_load_dwordx4 s[36:39], s[0:1], 0x0
	s_movk_i32 s4, 0x240
	v_mov_b32_e32 v71, 0
	v_mul_lo_u32 v2, v74, s4
	global_load_ushort v1, v71, s[0:1] offset:48
	s_waitcnt lgkmcnt(0)
	v_mov_b32_e32 v4, s36
	v_mov_b32_e32 v5, s37
	v_ashrrev_i32_e32 v3, 31, v2
	v_and_b32_e32 v75, 0x3ff, v0
	v_lshl_add_u64 v[4:5], v[2:3], 2, v[4:5]
	v_lshlrev_b32_e32 v70, 2, v75
	v_lshl_add_u64 v[4:5], v[4:5], 0, v[70:71]
	global_load_dword v38, v[4:5], off
	global_load_dword v37, v[4:5], off offset:128
	global_load_dword v20, v[4:5], off offset:256
	;; [unrolled: 1-line block ×17, first 2 shown]
	s_load_dwordx2 s[2:3], s[0:1], 0x10
	s_nop 0
	s_load_dword s0, s[0:1], 0x30
	s_waitcnt vmcnt(18)
	v_readfirstlane_b32 s1, v1
	s_and_b32 s4, 0xffff, s1
	s_waitcnt lgkmcnt(0)
	s_bitcmp1_b32 s0, 16
	s_cselect_b64 s[44:45], -1, 0
	s_and_b64 vcc, exec, s[44:45]
	s_cbranch_vccnz .LBB21_7
; %bb.2:
	v_and_b32_e32 v0, 1, v1
	v_cmp_eq_u32_e32 vcc, 0, v0
	s_cbranch_vccz .LBB21_4
; %bb.3:
	s_mov_b32 s0, 0xff800000
	s_waitcnt vmcnt(16)
	v_max3_f32 v0, v38, s0, v37
	s_waitcnt vmcnt(14)
	v_max3_f32 v0, v0, v20, v21
	s_waitcnt vmcnt(12)
	v_max3_f32 v0, v0, v22, v23
	v_mbcnt_lo_u32_b32 v1, -1, 0
	s_waitcnt vmcnt(10)
	v_max3_f32 v0, v0, v24, v25
	v_mbcnt_hi_u32_b32 v1, -1, v1
	s_waitcnt vmcnt(8)
	v_max3_f32 v0, v0, v26, v27
	v_and_b32_e32 v4, 0x60, v1
	s_waitcnt vmcnt(6)
	v_max3_f32 v0, v0, v28, v29
	v_add_u32_e32 v4, 32, v4
	v_xor_b32_e32 v5, 16, v1
	s_waitcnt vmcnt(4)
	v_max3_f32 v0, v0, v30, v31
	v_cmp_lt_i32_e32 vcc, v5, v4
	s_waitcnt vmcnt(2)
	v_max3_f32 v0, v0, v34, v33
	s_waitcnt vmcnt(0)
	v_max3_f32 v0, v0, v36, v35
	v_cndmask_b32_e32 v5, v1, v5, vcc
	v_lshlrev_b32_e32 v32, 2, v5
	ds_bpermute_b32 v5, v32, v0
	s_mov_b32 s1, 0x3fb8aa3b
	s_mov_b32 s0, 0xc2ce8ed0
	;; [unrolled: 1-line block ×3, first 2 shown]
	v_mov_b32_e32 v19, 0x7f800000
	s_waitcnt lgkmcnt(0)
	v_max_f32_e32 v5, v5, v5
	v_max_f32_e32 v0, v0, v5
	v_xor_b32_e32 v5, 8, v1
	v_cmp_lt_i32_e32 vcc, v5, v4
	s_nop 1
	v_cndmask_b32_e32 v5, v1, v5, vcc
	v_lshlrev_b32_e32 v39, 2, v5
	ds_bpermute_b32 v5, v39, v0
	s_waitcnt lgkmcnt(0)
	v_max_f32_e32 v5, v5, v5
	v_max_f32_e32 v0, v0, v5
	v_xor_b32_e32 v5, 4, v1
	v_cmp_lt_i32_e32 vcc, v5, v4
	s_nop 1
	v_cndmask_b32_e32 v5, v1, v5, vcc
	v_lshlrev_b32_e32 v40, 2, v5
	ds_bpermute_b32 v5, v40, v0
	;; [unrolled: 9-line block ×4, first 2 shown]
	s_waitcnt lgkmcnt(0)
	v_max_f32_e32 v1, v1, v1
	v_max_f32_e32 v18, v0, v1
	v_sub_f32_e32 v0, v38, v18
	v_mul_f32_e32 v1, 0x3fb8aa3b, v0
	v_fma_f32 v4, v0, s1, -v1
	v_rndne_f32_e32 v5, v1
	v_fmac_f32_e32 v4, 0x32a5705f, v0
	v_sub_f32_e32 v1, v1, v5
	v_add_f32_e32 v1, v1, v4
	v_exp_f32_e32 v1, v1
	v_cvt_i32_f32_e32 v4, v5
	v_cmp_ngt_f32_e32 vcc, s0, v0
	v_ldexp_f32 v1, v1, v4
	v_sub_f32_e32 v4, v37, v18
	v_mul_f32_e32 v5, 0x3fb8aa3b, v4
	v_fma_f32 v6, v4, s1, -v5
	v_rndne_f32_e32 v7, v5
	v_fmac_f32_e32 v6, 0x32a5705f, v4
	v_sub_f32_e32 v5, v5, v7
	v_add_f32_e32 v5, v5, v6
	v_exp_f32_e32 v5, v5
	v_cvt_i32_f32_e32 v6, v7
	v_cndmask_b32_e32 v1, 0, v1, vcc
	v_cmp_nlt_f32_e32 vcc, s5, v0
	s_nop 1
	v_cndmask_b32_e32 v0, v19, v1, vcc
	v_ldexp_f32 v1, v5, v6
	v_sub_f32_e32 v5, v20, v18
	v_mul_f32_e32 v6, 0x3fb8aa3b, v5
	v_fma_f32 v7, v5, s1, -v6
	v_rndne_f32_e32 v8, v6
	v_fmac_f32_e32 v7, 0x32a5705f, v5
	v_sub_f32_e32 v6, v6, v8
	v_add_f32_e32 v6, v6, v7
	v_exp_f32_e32 v6, v6
	v_cvt_i32_f32_e32 v7, v8
	v_cmp_ngt_f32_e32 vcc, s0, v4
	s_nop 1
	v_cndmask_b32_e32 v1, 0, v1, vcc
	v_cmp_nlt_f32_e32 vcc, s5, v4
	v_ldexp_f32 v4, v6, v7
	v_sub_f32_e32 v6, v21, v18
	v_mul_f32_e32 v7, 0x3fb8aa3b, v6
	v_fma_f32 v9, v6, s1, -v7
	v_rndne_f32_e32 v10, v7
	v_fmac_f32_e32 v9, 0x32a5705f, v6
	v_sub_f32_e32 v7, v7, v10
	v_add_f32_e32 v7, v7, v9
	v_exp_f32_e32 v7, v7
	v_cvt_i32_f32_e32 v9, v10
	v_cndmask_b32_e32 v1, v19, v1, vcc
	v_cmp_ngt_f32_e32 vcc, s0, v5
	v_add_f32_e32 v8, v0, v1
	s_nop 0
	v_cndmask_b32_e32 v4, 0, v4, vcc
	v_cmp_nlt_f32_e32 vcc, s5, v5
	v_ldexp_f32 v5, v7, v9
	v_sub_f32_e32 v7, v22, v18
	v_mul_f32_e32 v9, 0x3fb8aa3b, v7
	v_fma_f32 v10, v7, s1, -v9
	v_rndne_f32_e32 v11, v9
	v_fmac_f32_e32 v10, 0x32a5705f, v7
	v_sub_f32_e32 v9, v9, v11
	v_add_f32_e32 v9, v9, v10
	v_exp_f32_e32 v9, v9
	v_cvt_i32_f32_e32 v10, v11
	v_cndmask_b32_e32 v4, v19, v4, vcc
	v_cmp_ngt_f32_e32 vcc, s0, v6
	v_add_f32_e32 v8, v4, v8
	;; [unrolled: 16-line block ×4, first 2 shown]
	s_nop 0
	v_cndmask_b32_e32 v7, 0, v7, vcc
	v_cmp_nlt_f32_e32 vcc, s5, v9
	s_nop 1
	v_cndmask_b32_e32 v7, v19, v7, vcc
	v_add_f32_e32 v9, v7, v8
	v_ldexp_f32 v8, v11, v12
	v_sub_f32_e32 v11, v25, v18
	v_mul_f32_e32 v12, 0x3fb8aa3b, v11
	v_fma_f32 v13, v11, s1, -v12
	v_rndne_f32_e32 v14, v12
	v_fmac_f32_e32 v13, 0x32a5705f, v11
	v_sub_f32_e32 v12, v12, v14
	v_add_f32_e32 v12, v12, v13
	v_exp_f32_e32 v12, v12
	v_cvt_i32_f32_e32 v13, v14
	v_cmp_ngt_f32_e32 vcc, s0, v10
	s_nop 1
	v_cndmask_b32_e32 v8, 0, v8, vcc
	v_cmp_nlt_f32_e32 vcc, s5, v10
	s_nop 1
	v_cndmask_b32_e32 v8, v19, v8, vcc
	v_add_f32_e32 v10, v8, v9
	v_ldexp_f32 v9, v12, v13
	v_sub_f32_e32 v12, v26, v18
	v_mul_f32_e32 v13, 0x3fb8aa3b, v12
	v_fma_f32 v14, v12, s1, -v13
	v_rndne_f32_e32 v15, v13
	v_fmac_f32_e32 v14, 0x32a5705f, v12
	v_sub_f32_e32 v13, v13, v15
	v_add_f32_e32 v13, v13, v14
	v_exp_f32_e32 v13, v13
	v_cvt_i32_f32_e32 v14, v15
	v_cmp_ngt_f32_e32 vcc, s0, v11
	;; [unrolled: 17-line block ×10, first 2 shown]
	s_nop 1
	v_cndmask_b32_e32 v17, 0, v17, vcc
	v_cmp_nlt_f32_e32 vcc, s5, v44
	v_ldexp_f32 v44, v46, v47
	v_sub_f32_e32 v46, v35, v18
	v_mul_f32_e32 v18, 0x3fb8aa3b, v46
	v_fma_f32 v47, v46, s1, -v18
	v_rndne_f32_e32 v48, v18
	v_fmac_f32_e32 v47, 0x32a5705f, v46
	v_sub_f32_e32 v18, v18, v48
	v_add_f32_e32 v18, v18, v47
	v_exp_f32_e32 v47, v18
	v_cvt_i32_f32_e32 v48, v48
	v_cndmask_b32_e32 v17, v19, v17, vcc
	v_cmp_ngt_f32_e32 vcc, s0, v45
	v_add_f32_e32 v43, v17, v43
	s_nop 0
	v_cndmask_b32_e32 v44, 0, v44, vcc
	v_cmp_nlt_f32_e32 vcc, s5, v45
	s_nop 1
	v_cndmask_b32_e32 v18, v19, v44, vcc
	v_ldexp_f32 v44, v47, v48
	v_cmp_ngt_f32_e32 vcc, s0, v46
	v_add_f32_e32 v43, v18, v43
	s_nop 0
	v_cndmask_b32_e32 v44, 0, v44, vcc
	v_cmp_nlt_f32_e32 vcc, s5, v46
	s_nop 1
	v_cndmask_b32_e32 v19, v19, v44, vcc
	v_add_f32_e32 v43, v19, v43
	ds_bpermute_b32 v32, v32, v43
	s_waitcnt lgkmcnt(0)
	v_add_f32_e32 v32, v43, v32
	ds_bpermute_b32 v39, v39, v32
	s_waitcnt lgkmcnt(0)
	;; [unrolled: 3-line block ×5, first 2 shown]
	v_add_f32_e32 v32, v32, v39
	v_div_scale_f32 v39, s[0:1], v32, v32, 1.0
	v_rcp_f32_e32 v40, v39
	s_nop 0
	v_fma_f32 v41, -v39, v40, 1.0
	v_fmac_f32_e32 v40, v41, v40
	v_div_scale_f32 v41, vcc, 1.0, v32, 1.0
	v_mul_f32_e32 v42, v41, v40
	v_fma_f32 v43, -v39, v42, v41
	v_fmac_f32_e32 v42, v43, v40
	v_fma_f32 v39, -v39, v42, v41
	v_div_fmas_f32 v39, v39, v40, v42
	v_div_fixup_f32 v32, v39, v32, 1.0
	v_pk_mul_f32 v[0:1], v[0:1], v[32:33] op_sel_hi:[1,0]
	v_pk_mul_f32 v[4:5], v[4:5], v[32:33] op_sel_hi:[1,0]
	;; [unrolled: 1-line block ×9, first 2 shown]
	s_cbranch_execz .LBB21_5
	s_branch .LBB21_6
.LBB21_4:
                                        ; implicit-def: $vgpr19
                                        ; implicit-def: $vgpr17
                                        ; implicit-def: $vgpr15
                                        ; implicit-def: $vgpr13
                                        ; implicit-def: $vgpr11
                                        ; implicit-def: $vgpr9
                                        ; implicit-def: $vgpr7
                                        ; implicit-def: $vgpr5
                                        ; implicit-def: $vgpr1
.LBB21_5:
	s_waitcnt vmcnt(17)
	v_mul_f32_e32 v0, 0xbfb8aa3b, v38
	s_mov_b32 s5, 0xbfb8aa3b
	v_rndne_f32_e32 v1, v0
	v_sub_f32_e32 v4, v0, v1
	v_fma_f32 v0, v38, s5, -v0
	v_fmac_f32_e32 v0, 0xb2a5705f, v38
	v_add_f32_e32 v0, v4, v0
	v_exp_f32_e32 v0, v0
	v_cvt_i32_f32_e32 v1, v1
	s_mov_b32 s6, 0x42ce8ed0
	v_cmp_nlt_f32_e32 vcc, s6, v38
	s_mov_b32 s7, 0xc2b17218
	v_ldexp_f32 v0, v0, v1
	s_waitcnt vmcnt(16)
	v_mul_f32_e32 v1, 0xbfb8aa3b, v37
	v_rndne_f32_e32 v4, v1
	v_sub_f32_e32 v5, v1, v4
	v_fma_f32 v1, v37, s5, -v1
	v_fmac_f32_e32 v1, 0xb2a5705f, v37
	v_add_f32_e32 v1, v5, v1
	v_exp_f32_e32 v1, v1
	v_cvt_i32_f32_e32 v4, v4
	v_cndmask_b32_e32 v0, 0, v0, vcc
	v_mov_b32_e32 v17, 0x7f800000
	v_cmp_ngt_f32_e32 vcc, s7, v38
	v_ldexp_f32 v1, v1, v4
	s_nop 0
	v_cndmask_b32_e32 v0, v17, v0, vcc
	v_cmp_nlt_f32_e32 vcc, s6, v37
	s_nop 1
	v_cndmask_b32_e32 v1, 0, v1, vcc
	v_cmp_ngt_f32_e32 vcc, s7, v37
	s_nop 1
	v_cndmask_b32_e32 v1, v17, v1, vcc
	v_pk_add_f32 v[0:1], v[0:1], 1.0 op_sel_hi:[1,0]
	s_nop 0
	v_div_scale_f32 v4, s[0:1], v0, v0, 1.0
	v_rcp_f32_e32 v5, v4
	s_nop 0
	v_fma_f32 v6, -v4, v5, 1.0
	v_fmac_f32_e32 v5, v6, v5
	v_div_scale_f32 v6, vcc, 1.0, v0, 1.0
	v_mul_f32_e32 v7, v6, v5
	v_fma_f32 v8, -v4, v7, v6
	v_fmac_f32_e32 v7, v8, v5
	v_fma_f32 v4, -v4, v7, v6
	v_div_scale_f32 v6, s[0:1], v1, v1, 1.0
	v_rcp_f32_e32 v8, v6
	v_div_fmas_f32 v4, v4, v5, v7
	s_waitcnt vmcnt(15)
	v_mul_f32_e32 v5, 0xbfb8aa3b, v20
	v_rndne_f32_e32 v9, v5
	v_sub_f32_e32 v10, v5, v9
	v_fma_f32 v5, v20, s5, -v5
	v_fmac_f32_e32 v5, 0xb2a5705f, v20
	v_div_fixup_f32 v0, v4, v0, 1.0
	v_fma_f32 v4, -v6, v8, 1.0
	v_add_f32_e32 v5, v10, v5
	v_fmac_f32_e32 v8, v4, v8
	v_div_scale_f32 v4, vcc, 1.0, v1, 1.0
	v_exp_f32_e32 v5, v5
	v_cvt_i32_f32_e32 v9, v9
	v_mul_f32_e32 v7, v4, v8
	v_fma_f32 v10, -v6, v7, v4
	v_fmac_f32_e32 v7, v10, v8
	v_fma_f32 v6, -v6, v7, v4
	v_ldexp_f32 v4, v5, v9
	s_waitcnt vmcnt(14)
	v_mul_f32_e32 v5, 0xbfb8aa3b, v21
	v_rndne_f32_e32 v9, v5
	v_sub_f32_e32 v10, v5, v9
	v_fma_f32 v5, v21, s5, -v5
	v_fmac_f32_e32 v5, 0xb2a5705f, v21
	v_add_f32_e32 v5, v10, v5
	v_exp_f32_e32 v5, v5
	v_cvt_i32_f32_e32 v9, v9
	v_cmp_nlt_f32_e64 s[0:1], s6, v20
	v_div_fmas_f32 v6, v6, v8, v7
	v_div_fixup_f32 v1, v6, v1, 1.0
	v_cndmask_b32_e64 v4, 0, v4, s[0:1]
	v_cmp_ngt_f32_e64 s[0:1], s7, v20
	v_ldexp_f32 v5, v5, v9
	s_nop 0
	v_cndmask_b32_e64 v4, v17, v4, s[0:1]
	v_cmp_nlt_f32_e64 s[0:1], s6, v21
	s_nop 1
	v_cndmask_b32_e64 v5, 0, v5, s[0:1]
	v_cmp_ngt_f32_e64 s[0:1], s7, v21
	s_nop 1
	v_cndmask_b32_e64 v5, v17, v5, s[0:1]
	v_pk_add_f32 v[4:5], v[4:5], 1.0 op_sel_hi:[1,0]
	s_nop 0
	v_div_scale_f32 v9, s[0:1], v4, v4, 1.0
	v_rcp_f32_e32 v10, v9
	s_nop 0
	v_fma_f32 v6, -v9, v10, 1.0
	v_fmac_f32_e32 v10, v6, v10
	v_div_scale_f32 v6, vcc, 1.0, v4, 1.0
	v_mul_f32_e32 v7, v6, v10
	v_fma_f32 v8, -v9, v7, v6
	v_fmac_f32_e32 v7, v8, v10
	v_fma_f32 v6, -v9, v7, v6
	v_div_scale_f32 v8, s[0:1], v5, v5, 1.0
	v_rcp_f32_e32 v9, v8
	v_div_fmas_f32 v6, v6, v10, v7
	s_waitcnt vmcnt(13)
	v_mul_f32_e32 v7, 0xbfb8aa3b, v22
	v_rndne_f32_e32 v11, v7
	v_sub_f32_e32 v12, v7, v11
	v_fma_f32 v7, v22, s5, -v7
	v_fmac_f32_e32 v7, 0xb2a5705f, v22
	v_div_fixup_f32 v4, v6, v4, 1.0
	v_fma_f32 v6, -v8, v9, 1.0
	v_add_f32_e32 v7, v12, v7
	v_fmac_f32_e32 v9, v6, v9
	v_div_scale_f32 v6, vcc, 1.0, v5, 1.0
	v_exp_f32_e32 v7, v7
	v_cvt_i32_f32_e32 v11, v11
	v_mul_f32_e32 v10, v6, v9
	v_fma_f32 v12, -v8, v10, v6
	v_fmac_f32_e32 v10, v12, v9
	v_fma_f32 v8, -v8, v10, v6
	v_ldexp_f32 v6, v7, v11
	s_waitcnt vmcnt(12)
	v_mul_f32_e32 v7, 0xbfb8aa3b, v23
	v_rndne_f32_e32 v11, v7
	v_sub_f32_e32 v12, v7, v11
	v_fma_f32 v7, v23, s5, -v7
	v_fmac_f32_e32 v7, 0xb2a5705f, v23
	v_add_f32_e32 v7, v12, v7
	v_exp_f32_e32 v7, v7
	v_cvt_i32_f32_e32 v11, v11
	v_cmp_nlt_f32_e64 s[0:1], s6, v22
	v_div_fmas_f32 v8, v8, v9, v10
	v_div_fixup_f32 v5, v8, v5, 1.0
	v_cndmask_b32_e64 v6, 0, v6, s[0:1]
	v_cmp_ngt_f32_e64 s[0:1], s7, v22
	v_ldexp_f32 v7, v7, v11
	s_nop 0
	v_cndmask_b32_e64 v6, v17, v6, s[0:1]
	v_cmp_nlt_f32_e64 s[0:1], s6, v23
	s_nop 1
	v_cndmask_b32_e64 v7, 0, v7, s[0:1]
	v_cmp_ngt_f32_e64 s[0:1], s7, v23
	s_nop 1
	v_cndmask_b32_e64 v7, v17, v7, s[0:1]
	;; [unrolled: 56-line block ×6, first 2 shown]
	v_pk_add_f32 v[14:15], v[14:15], 1.0 op_sel_hi:[1,0]
	s_nop 0
	v_div_scale_f32 v20, s[0:1], v14, v14, 1.0
	v_rcp_f32_e32 v21, v20
	s_nop 0
	v_fma_f32 v16, -v20, v21, 1.0
	v_fmac_f32_e32 v21, v16, v21
	v_div_scale_f32 v16, vcc, 1.0, v14, 1.0
	v_mul_f32_e32 v18, v16, v21
	v_fma_f32 v19, -v20, v18, v16
	v_fmac_f32_e32 v18, v19, v21
	v_div_scale_f32 v19, s[0:1], v15, v15, 1.0
	v_fma_f32 v16, -v20, v18, v16
	v_rcp_f32_e32 v20, v19
	v_div_fmas_f32 v16, v16, v21, v18
	s_waitcnt vmcnt(3)
	v_mul_f32_e32 v18, 0xbfb8aa3b, v34
	v_rndne_f32_e32 v22, v18
	v_sub_f32_e32 v23, v18, v22
	v_fma_f32 v18, v34, s5, -v18
	v_div_fixup_f32 v14, v16, v14, 1.0
	v_fma_f32 v16, -v19, v20, 1.0
	v_fmac_f32_e32 v18, 0xb2a5705f, v34
	v_fmac_f32_e32 v20, v16, v20
	v_div_scale_f32 v16, vcc, 1.0, v15, 1.0
	v_add_f32_e32 v18, v23, v18
	v_mul_f32_e32 v21, v16, v20
	v_exp_f32_e32 v18, v18
	v_cvt_i32_f32_e32 v22, v22
	v_fma_f32 v23, -v19, v21, v16
	v_fmac_f32_e32 v21, v23, v20
	v_fma_f32 v16, -v19, v21, v16
	s_waitcnt vmcnt(2)
	v_mul_f32_e32 v19, 0xbfb8aa3b, v33
	v_ldexp_f32 v18, v18, v22
	v_rndne_f32_e32 v22, v19
	v_sub_f32_e32 v23, v19, v22
	v_fma_f32 v19, v33, s5, -v19
	v_fmac_f32_e32 v19, 0xb2a5705f, v33
	v_add_f32_e32 v19, v23, v19
	v_exp_f32_e32 v19, v19
	v_cvt_i32_f32_e32 v22, v22
	v_cmp_nlt_f32_e64 s[0:1], s6, v34
	v_div_fmas_f32 v16, v16, v20, v21
	v_div_fixup_f32 v15, v16, v15, 1.0
	v_cndmask_b32_e64 v18, 0, v18, s[0:1]
	v_cmp_ngt_f32_e64 s[0:1], s7, v34
	v_ldexp_f32 v19, v19, v22
	s_nop 0
	v_cndmask_b32_e64 v18, v17, v18, s[0:1]
	v_cmp_nlt_f32_e64 s[0:1], s6, v33
	s_nop 1
	v_cndmask_b32_e64 v19, 0, v19, s[0:1]
	v_cmp_ngt_f32_e64 s[0:1], s7, v33
	s_nop 1
	v_cndmask_b32_e64 v19, v17, v19, s[0:1]
	v_pk_add_f32 v[18:19], v[18:19], 1.0 op_sel_hi:[1,0]
	s_nop 0
	v_div_scale_f32 v22, s[0:1], v18, v18, 1.0
	v_rcp_f32_e32 v23, v22
	s_nop 0
	v_fma_f32 v16, -v22, v23, 1.0
	v_fmac_f32_e32 v23, v16, v23
	v_div_scale_f32 v16, vcc, 1.0, v18, 1.0
	v_mul_f32_e32 v20, v16, v23
	v_fma_f32 v21, -v22, v20, v16
	v_fmac_f32_e32 v20, v21, v23
	v_div_scale_f32 v21, s[0:1], v19, v19, 1.0
	v_fma_f32 v16, -v22, v20, v16
	v_rcp_f32_e32 v22, v21
	v_div_fmas_f32 v16, v16, v23, v20
	s_waitcnt vmcnt(1)
	v_mul_f32_e32 v20, 0xbfb8aa3b, v36
	v_rndne_f32_e32 v24, v20
	v_sub_f32_e32 v25, v20, v24
	v_fma_f32 v20, v36, s5, -v20
	v_div_fixup_f32 v16, v16, v18, 1.0
	v_fma_f32 v18, -v21, v22, 1.0
	v_fmac_f32_e32 v20, 0xb2a5705f, v36
	v_fmac_f32_e32 v22, v18, v22
	v_div_scale_f32 v18, vcc, 1.0, v19, 1.0
	v_add_f32_e32 v20, v25, v20
	v_mul_f32_e32 v23, v18, v22
	v_exp_f32_e32 v20, v20
	v_cvt_i32_f32_e32 v24, v24
	v_fma_f32 v25, -v21, v23, v18
	v_fmac_f32_e32 v23, v25, v22
	v_fma_f32 v18, -v21, v23, v18
	s_waitcnt vmcnt(0)
	v_mul_f32_e32 v21, 0xbfb8aa3b, v35
	v_ldexp_f32 v20, v20, v24
	v_rndne_f32_e32 v24, v21
	v_sub_f32_e32 v25, v21, v24
	v_fma_f32 v21, v35, s5, -v21
	v_fmac_f32_e32 v21, 0xb2a5705f, v35
	v_add_f32_e32 v21, v25, v21
	v_exp_f32_e32 v21, v21
	v_cvt_i32_f32_e32 v24, v24
	v_cmp_nlt_f32_e64 s[0:1], s6, v36
	v_ldexp_f32 v21, v21, v24
	s_nop 0
	v_cndmask_b32_e64 v20, 0, v20, s[0:1]
	v_cmp_ngt_f32_e64 s[0:1], s7, v36
	s_nop 1
	v_cndmask_b32_e64 v20, v17, v20, s[0:1]
	v_cmp_nlt_f32_e64 s[0:1], s6, v35
	s_nop 1
	v_cndmask_b32_e64 v21, 0, v21, s[0:1]
	v_cmp_ngt_f32_e64 s[0:1], s7, v35
	s_nop 1
	v_cndmask_b32_e64 v21, v17, v21, s[0:1]
	v_pk_add_f32 v[20:21], v[20:21], 1.0 op_sel_hi:[1,0]
	v_div_fmas_f32 v17, v18, v22, v23
	v_div_scale_f32 v24, s[0:1], v20, v20, 1.0
	v_rcp_f32_e32 v25, v24
	v_div_fixup_f32 v17, v17, v19, 1.0
	v_fma_f32 v18, -v24, v25, 1.0
	v_fmac_f32_e32 v25, v18, v25
	v_div_scale_f32 v18, vcc, 1.0, v20, 1.0
	v_mul_f32_e32 v19, v18, v25
	v_fma_f32 v22, -v24, v19, v18
	v_fmac_f32_e32 v19, v22, v25
	v_div_scale_f32 v22, s[0:1], v21, v21, 1.0
	v_rcp_f32_e32 v23, v22
	v_fma_f32 v18, -v24, v19, v18
	v_div_fmas_f32 v18, v18, v25, v19
	v_div_fixup_f32 v18, v18, v20, 1.0
	v_fma_f32 v19, -v22, v23, 1.0
	v_fmac_f32_e32 v23, v19, v23
	v_div_scale_f32 v19, vcc, 1.0, v21, 1.0
	v_mul_f32_e32 v20, v19, v23
	v_fma_f32 v24, -v22, v20, v19
	v_fmac_f32_e32 v20, v24, v23
	v_fma_f32 v19, -v22, v20, v19
	v_div_fmas_f32 v19, v19, v23, v20
	v_div_fixup_f32 v19, v19, v21, 1.0
.LBB21_6:
	s_waitcnt vmcnt(17)
	v_mov_b32_e32 v38, v0
	s_waitcnt vmcnt(16)
	v_mov_b32_e32 v37, v1
	;; [unrolled: 2-line block ×18, first 2 shown]
.LBB21_7:
	s_lshr_b32 s30, s4, 8
	s_cmp_gt_i32 s41, 0
	s_cbranch_scc1 .LBB21_9
; %bb.8:
	s_bitcmp1_b32 s30, 0
	s_mov_b64 s[0:1], 0
	s_cselect_b64 s[46:47], -1, 0
	s_branch .LBB21_10
.LBB21_9:
	s_mov_b64 s[0:1], -1
                                        ; implicit-def: $sgpr46_sgpr47
.LBB21_10:
	v_add_u32_e32 v92, 32, v75
	v_add_u32_e32 v91, 64, v75
	;; [unrolled: 1-line block ×17, first 2 shown]
	s_mov_b32 s33, 0
	s_andn2_b64 vcc, exec, s[0:1]
	v_mbcnt_lo_u32_b32 v71, -1, 0
	s_cbranch_vccnz .LBB21_37
; %bb.11:
	v_mov_b32_e32 v0, s2
	v_mov_b32_e32 v1, s3
	v_lshl_add_u64 v[72:73], v[2:3], 2, v[0:1]
	v_mbcnt_hi_u32_b32 v0, -1, v71
	v_and_b32_e32 v1, 0x60, v0
	v_add_u32_e32 v1, 32, v1
	v_xor_b32_e32 v2, 16, v0
	s_bitcmp1_b32 s30, 0
	v_cmp_lt_i32_e64 s[30:31], v2, v1
	v_mov_b32_e32 v39, 0xff7fffff
	s_waitcnt vmcnt(15)
	v_cmp_o_f32_e32 vcc, v20, v20
	v_cndmask_b32_e64 v2, v0, v2, s[30:31]
	v_lshlrev_b32_e32 v93, 2, v2
	v_xor_b32_e32 v2, 8, v0
	v_cmp_lt_i32_e64 s[30:31], v2, v1
	s_waitcnt vmcnt(14)
	v_cmp_o_f32_e64 s[0:1], v21, v21
	s_waitcnt vmcnt(13)
	v_cmp_o_f32_e64 s[2:3], v22, v22
	v_cndmask_b32_e64 v2, v0, v2, s[30:31]
	v_lshlrev_b32_e32 v94, 2, v2
	v_xor_b32_e32 v2, 4, v0
	v_cmp_lt_i32_e64 s[30:31], v2, v1
	s_waitcnt vmcnt(12)
	v_cmp_o_f32_e64 s[4:5], v23, v23
	s_waitcnt vmcnt(11)
	v_cmp_o_f32_e64 s[6:7], v24, v24
	;; [unrolled: 8-line block ×4, first 2 shown]
	v_cndmask_b32_e64 v0, v0, v2, s[30:31]
	v_cmp_o_f32_e64 s[30:31], v38, v38
	s_waitcnt vmcnt(6)
	v_cmp_o_f32_e64 s[16:17], v29, v29
	s_waitcnt vmcnt(5)
	v_cmp_o_f32_e64 s[18:19], v30, v30
	s_waitcnt vmcnt(4)
	v_cmp_o_f32_e64 s[20:21], v31, v31
	s_waitcnt vmcnt(3)
	v_cmp_o_f32_e64 s[22:23], v34, v34
	s_waitcnt vmcnt(2)
	v_cmp_o_f32_e64 s[24:25], v33, v33
	s_waitcnt vmcnt(1)
	v_cmp_o_f32_e64 s[26:27], v36, v36
	s_waitcnt vmcnt(0)
	v_cmp_o_f32_e64 s[28:29], v35, v35
	v_mov_b32_e32 v32, 0
	v_cndmask_b32_e64 v18, v39, v38, s[30:31]
	v_cmp_o_f32_e64 s[30:31], v37, v37
	s_cselect_b64 s[46:47], -1, 0
	v_lshlrev_b32_e32 v97, 2, v0
	v_mov_b32_e32 v0, 0
	v_mov_b32_e32 v1, v32
	;; [unrolled: 1-line block ×19, first 2 shown]
	v_cndmask_b32_e64 v19, v39, v37, s[30:31]
	v_cndmask_b32_e32 v20, v39, v20, vcc
	v_cndmask_b32_e64 v21, v39, v21, s[0:1]
	v_cndmask_b32_e64 v22, v39, v22, s[2:3]
	;; [unrolled: 1-line block ×15, first 2 shown]
	s_branch .LBB21_13
.LBB21_12:                              ;   in Loop: Header=BB21_13 Depth=1
	s_or_b64 exec, exec, s[0:1]
	s_and_b32 s0, s33, 31
	s_waitcnt lgkmcnt(0)
	v_mov_b64_e32 v[68:69], v[30:31]
	s_lshr_b32 s1, s33, 5
	v_mov_b64_e32 v[66:67], v[28:29]
	v_mov_b64_e32 v[64:65], v[26:27]
	v_mov_b64_e32 v[62:63], v[24:25]
	v_mov_b64_e32 v[60:61], v[22:23]
	v_mov_b64_e32 v[58:59], v[20:21]
	v_mov_b64_e32 v[56:57], v[18:19]
	v_mov_b64_e32 v[54:55], v[16:17]
	v_mov_b64_e32 v[52:53], v[14:15]
	v_mov_b64_e32 v[50:51], v[12:13]
	v_mov_b64_e32 v[48:49], v[10:11]
	v_mov_b64_e32 v[46:47], v[8:9]
	v_mov_b64_e32 v[44:45], v[6:7]
	v_mov_b64_e32 v[42:43], v[4:5]
	v_mov_b64_e32 v[40:41], v[2:3]
	v_mov_b64_e32 v[38:39], v[0:1]
	v_cmp_eq_u32_e32 vcc, s0, v75
	s_add_i32 s33, s33, 1
	s_set_gpr_idx_on s1, gpr_idx(DST)
	v_mov_b32_e32 v38, v37
	s_set_gpr_idx_off
	v_cndmask_b32_e32 v17, v17, v55, vcc
	v_cndmask_b32_e32 v16, v16, v54, vcc
	;; [unrolled: 1-line block ×18, first 2 shown]
	s_cmp_eq_u32 s41, s33
	v_lshl_add_u64 v[72:73], v[72:73], 0, 4
	s_cbranch_scc1 .LBB21_38
.LBB21_13:                              ; =>This Inner Loop Header: Depth=1
	v_cmp_gt_f32_e32 vcc, v19, v18
	s_nop 1
	v_cndmask_b32_e32 v37, v18, v19, vcc
	v_cmp_gt_f32_e64 s[0:1], v20, v37
	v_cndmask_b32_e32 v38, v75, v92, vcc
	s_nop 0
	v_cndmask_b32_e64 v37, v37, v20, s[0:1]
	v_cmp_gt_f32_e32 vcc, v21, v37
	v_cndmask_b32_e64 v38, v38, v91, s[0:1]
	s_nop 0
	v_cndmask_b32_e32 v37, v37, v21, vcc
	v_cndmask_b32_e32 v38, v38, v90, vcc
	v_cmp_gt_f32_e32 vcc, v22, v37
	s_nop 1
	v_cndmask_b32_e32 v37, v37, v22, vcc
	v_cndmask_b32_e32 v38, v38, v89, vcc
	v_cmp_gt_f32_e32 vcc, v23, v37
	;; [unrolled: 4-line block ×14, first 2 shown]
	s_nop 1
	v_cndmask_b32_e32 v37, v37, v35, vcc
	v_cndmask_b32_e32 v38, v38, v76, vcc
	ds_bpermute_b32 v39, v93, v37
	ds_bpermute_b32 v40, v93, v38
	s_waitcnt lgkmcnt(1)
	v_cmp_lt_f32_e64 s[2:3], v37, v39
	v_cmp_nlt_f32_e32 vcc, v37, v39
	s_and_saveexec_b64 s[4:5], vcc
	s_cbranch_execz .LBB21_15
; %bb.14:                               ;   in Loop: Header=BB21_13 Depth=1
	v_cmp_eq_f32_e32 vcc, v37, v39
	s_waitcnt lgkmcnt(0)
	v_cmp_lt_i32_e64 s[0:1], v40, v38
	s_and_b64 s[0:1], vcc, s[0:1]
	s_andn2_b64 s[2:3], s[2:3], exec
	s_and_b64 s[0:1], s[0:1], exec
	s_or_b64 s[2:3], s[2:3], s[0:1]
.LBB21_15:                              ;   in Loop: Header=BB21_13 Depth=1
	s_or_b64 exec, exec, s[4:5]
	s_and_saveexec_b64 s[0:1], s[2:3]
	s_cbranch_execz .LBB21_17
; %bb.16:                               ;   in Loop: Header=BB21_13 Depth=1
	v_mov_b32_e32 v37, v39
	s_waitcnt lgkmcnt(0)
	v_mov_b32_e32 v38, v40
.LBB21_17:                              ;   in Loop: Header=BB21_13 Depth=1
	s_or_b64 exec, exec, s[0:1]
	s_waitcnt lgkmcnt(0)
	ds_bpermute_b32 v40, v94, v37
	ds_bpermute_b32 v39, v94, v38
	s_waitcnt lgkmcnt(1)
	v_cmp_lt_f32_e64 s[2:3], v37, v40
	v_cmp_nlt_f32_e32 vcc, v37, v40
	s_and_saveexec_b64 s[4:5], vcc
	s_cbranch_execz .LBB21_19
; %bb.18:                               ;   in Loop: Header=BB21_13 Depth=1
	v_cmp_eq_f32_e32 vcc, v37, v40
	s_waitcnt lgkmcnt(0)
	v_cmp_lt_i32_e64 s[0:1], v39, v38
	s_and_b64 s[0:1], vcc, s[0:1]
	s_andn2_b64 s[2:3], s[2:3], exec
	s_and_b64 s[0:1], s[0:1], exec
	s_or_b64 s[2:3], s[2:3], s[0:1]
.LBB21_19:                              ;   in Loop: Header=BB21_13 Depth=1
	s_or_b64 exec, exec, s[4:5]
	s_and_saveexec_b64 s[0:1], s[2:3]
	s_cbranch_execz .LBB21_21
; %bb.20:                               ;   in Loop: Header=BB21_13 Depth=1
	v_mov_b32_e32 v37, v40
	s_waitcnt lgkmcnt(0)
	v_mov_b32_e32 v38, v39
.LBB21_21:                              ;   in Loop: Header=BB21_13 Depth=1
	s_or_b64 exec, exec, s[0:1]
	ds_bpermute_b32 v40, v95, v37
	s_waitcnt lgkmcnt(1)
	ds_bpermute_b32 v39, v95, v38
	s_waitcnt lgkmcnt(1)
	v_cmp_lt_f32_e64 s[2:3], v37, v40
	v_cmp_nlt_f32_e32 vcc, v37, v40
	s_and_saveexec_b64 s[4:5], vcc
	s_cbranch_execz .LBB21_23
; %bb.22:                               ;   in Loop: Header=BB21_13 Depth=1
	v_cmp_eq_f32_e32 vcc, v37, v40
	s_waitcnt lgkmcnt(0)
	v_cmp_lt_i32_e64 s[0:1], v39, v38
	s_and_b64 s[0:1], vcc, s[0:1]
	s_andn2_b64 s[2:3], s[2:3], exec
	s_and_b64 s[0:1], s[0:1], exec
	s_or_b64 s[2:3], s[2:3], s[0:1]
.LBB21_23:                              ;   in Loop: Header=BB21_13 Depth=1
	s_or_b64 exec, exec, s[4:5]
	s_and_saveexec_b64 s[0:1], s[2:3]
	s_cbranch_execz .LBB21_25
; %bb.24:                               ;   in Loop: Header=BB21_13 Depth=1
	v_mov_b32_e32 v37, v40
	s_waitcnt lgkmcnt(0)
	v_mov_b32_e32 v38, v39
.LBB21_25:                              ;   in Loop: Header=BB21_13 Depth=1
	s_or_b64 exec, exec, s[0:1]
	ds_bpermute_b32 v40, v96, v37
	s_waitcnt lgkmcnt(1)
	ds_bpermute_b32 v39, v96, v38
	s_waitcnt lgkmcnt(1)
	v_cmp_lt_f32_e64 s[2:3], v37, v40
	v_cmp_nlt_f32_e32 vcc, v37, v40
	s_and_saveexec_b64 s[4:5], vcc
	s_cbranch_execz .LBB21_27
; %bb.26:                               ;   in Loop: Header=BB21_13 Depth=1
	v_cmp_eq_f32_e32 vcc, v37, v40
	s_waitcnt lgkmcnt(0)
	v_cmp_lt_i32_e64 s[0:1], v39, v38
	s_and_b64 s[0:1], vcc, s[0:1]
	s_andn2_b64 s[2:3], s[2:3], exec
	s_and_b64 s[0:1], s[0:1], exec
	s_or_b64 s[2:3], s[2:3], s[0:1]
.LBB21_27:                              ;   in Loop: Header=BB21_13 Depth=1
	s_or_b64 exec, exec, s[4:5]
	s_and_saveexec_b64 s[0:1], s[2:3]
	s_cbranch_execz .LBB21_29
; %bb.28:                               ;   in Loop: Header=BB21_13 Depth=1
	v_mov_b32_e32 v37, v40
	s_waitcnt lgkmcnt(0)
	v_mov_b32_e32 v38, v39
.LBB21_29:                              ;   in Loop: Header=BB21_13 Depth=1
	s_or_b64 exec, exec, s[0:1]
	s_waitcnt lgkmcnt(0)
	ds_bpermute_b32 v39, v97, v37
	ds_bpermute_b32 v40, v97, v38
	s_waitcnt lgkmcnt(1)
	v_cmp_lt_f32_e64 s[2:3], v37, v39
	v_cmp_nlt_f32_e32 vcc, v37, v39
	s_and_saveexec_b64 s[4:5], vcc
	s_cbranch_execz .LBB21_31
; %bb.30:                               ;   in Loop: Header=BB21_13 Depth=1
	v_cmp_eq_f32_e32 vcc, v37, v39
	s_waitcnt lgkmcnt(0)
	v_cmp_lt_i32_e64 s[0:1], v40, v38
	s_and_b64 s[0:1], vcc, s[0:1]
	s_andn2_b64 s[2:3], s[2:3], exec
	s_and_b64 s[0:1], s[0:1], exec
	s_or_b64 s[2:3], s[2:3], s[0:1]
.LBB21_31:                              ;   in Loop: Header=BB21_13 Depth=1
	s_or_b64 exec, exec, s[4:5]
	s_and_saveexec_b64 s[0:1], s[2:3]
	s_cbranch_execz .LBB21_33
; %bb.32:                               ;   in Loop: Header=BB21_13 Depth=1
	v_mov_b32_e32 v37, v39
	s_waitcnt lgkmcnt(0)
	v_mov_b32_e32 v38, v40
.LBB21_33:                              ;   in Loop: Header=BB21_13 Depth=1
	s_or_b64 exec, exec, s[0:1]
	v_and_b32_e32 v39, 31, v38
	v_cmp_eq_u32_e32 vcc, v39, v75
	s_and_saveexec_b64 s[48:49], vcc
	s_cbranch_execz .LBB21_35
; %bb.34:                               ;   in Loop: Header=BB21_13 Depth=1
	v_ashrrev_i32_e32 v39, 31, v38
	v_lshrrev_b32_e32 v39, 27, v39
	v_add_u32_e32 v39, v38, v39
	v_ashrrev_i32_e32 v39, 5, v39
	v_cmp_ne_u32_e64 s[0:1], 16, v39
	v_cmp_ne_u32_e64 s[2:3], 15, v39
	;; [unrolled: 1-line block ×18, first 2 shown]
	v_cndmask_b32_e64 v36, v98, v36, s[0:1]
	v_cndmask_b32_e64 v33, v98, v33, s[2:3]
	;; [unrolled: 1-line block ×18, first 2 shown]
.LBB21_35:                              ;   in Loop: Header=BB21_13 Depth=1
	s_or_b64 exec, exec, s[48:49]
	s_and_saveexec_b64 s[0:1], vcc
	s_cbranch_execz .LBB21_12
; %bb.36:                               ;   in Loop: Header=BB21_13 Depth=1
	v_add_f32_e32 v39, v32, v37
	v_cndmask_b32_e64 v32, v32, v39, s[46:47]
	global_store_dword v[72:73], v38, off
	s_branch .LBB21_12
.LBB21_37:
	v_mov_b32_e32 v32, 0
	s_waitcnt vmcnt(2)
	v_mov_b32_e32 v33, v32
	v_mov_b32_e32 v34, v32
	s_waitcnt vmcnt(0)
	v_mov_b32_e32 v35, v32
	v_mov_b32_e32 v36, v32
	;; [unrolled: 1-line block ×15, first 2 shown]
	v_mov_b64_e32 v[0:1], v[32:33]
	v_mov_b64_e32 v[2:3], v[34:35]
	;; [unrolled: 1-line block ×16, first 2 shown]
.LBB21_38:
	s_and_b64 vcc, exec, s[46:47]
	s_cbranch_vccz .LBB21_40
; %bb.39:
	v_mbcnt_hi_u32_b32 v18, -1, v71
	v_and_b32_e32 v19, 0x60, v18
	v_add_u32_e32 v19, 32, v19
	v_xor_b32_e32 v20, 16, v18
	v_cmp_lt_i32_e32 vcc, v20, v19
	v_xor_b32_e32 v21, 8, v18
	v_xor_b32_e32 v22, 4, v18
	v_cndmask_b32_e32 v20, v18, v20, vcc
	v_lshlrev_b32_e32 v20, 2, v20
	ds_bpermute_b32 v20, v20, v32
	v_cmp_lt_i32_e32 vcc, v21, v19
	s_waitcnt lgkmcnt(0)
	v_add_f32_e32 v20, v32, v20
	v_cndmask_b32_e32 v21, v18, v21, vcc
	v_lshlrev_b32_e32 v21, 2, v21
	ds_bpermute_b32 v21, v21, v20
	v_cmp_lt_i32_e32 vcc, v22, v19
	s_waitcnt lgkmcnt(0)
	v_add_f32_e32 v20, v20, v21
	v_cndmask_b32_e32 v21, v18, v22, vcc
	v_lshlrev_b32_e32 v21, 2, v21
	ds_bpermute_b32 v21, v21, v20
	v_xor_b32_e32 v22, 2, v18
	v_cmp_lt_i32_e32 vcc, v22, v19
	s_waitcnt lgkmcnt(0)
	v_add_f32_e32 v20, v20, v21
	v_cndmask_b32_e32 v21, v18, v22, vcc
	v_lshlrev_b32_e32 v21, 2, v21
	ds_bpermute_b32 v21, v21, v20
	v_xor_b32_e32 v22, 1, v18
	v_cmp_lt_i32_e32 vcc, v22, v19
	v_max_f32_e64 v19, s42, s42
	s_waitcnt lgkmcnt(0)
	v_add_f32_e32 v20, v20, v21
	v_cndmask_b32_e32 v18, v18, v22, vcc
	v_lshlrev_b32_e32 v18, 2, v18
	ds_bpermute_b32 v18, v18, v20
	s_waitcnt lgkmcnt(0)
	v_add_f32_e32 v18, v20, v18
	v_max_f32_e32 v18, v18, v19
	v_div_scale_f32 v19, s[0:1], v18, v18, 1.0
	v_rcp_f32_e32 v20, v19
	v_div_scale_f32 v21, vcc, 1.0, v18, 1.0
	v_fma_f32 v22, -v19, v20, 1.0
	v_fmac_f32_e32 v20, v22, v20
	v_mul_f32_e32 v22, v21, v20
	v_fma_f32 v23, -v19, v22, v21
	v_fmac_f32_e32 v22, v23, v20
	v_fma_f32 v19, -v19, v22, v21
	v_div_fmas_f32 v19, v19, v20, v22
	v_div_fixup_f32 v18, v19, v18, 1.0
	v_pk_mul_f32 v[16:17], v[18:19], v[16:17] op_sel_hi:[0,1]
	v_pk_mul_f32 v[14:15], v[18:19], v[14:15] op_sel_hi:[0,1]
	;; [unrolled: 1-line block ×9, first 2 shown]
.LBB21_40:
	s_andn2_b64 vcc, exec, s[44:45]
	v_cmp_gt_i32_e64 s[34:35], s41, v92
	v_cmp_gt_i32_e64 s[30:31], s41, v91
	;; [unrolled: 1-line block ×18, first 2 shown]
	s_cbranch_vccnz .LBB21_42
; %bb.41:
	v_max_f32_e32 v18, v0, v0
	v_max_f32_e32 v18, 0xff800000, v18
	v_mov_b32_e32 v19, 0xff800000
	v_cndmask_b32_e64 v18, v19, v18, s[36:37]
	v_max_f32_e32 v19, v1, v1
	v_max_f32_e32 v19, v18, v19
	v_cndmask_b32_e64 v18, v18, v19, s[34:35]
	v_max_f32_e32 v19, v2, v2
	v_max_f32_e32 v19, v18, v19
	;; [unrolled: 3-line block ×5, first 2 shown]
	v_max_f32_e32 v19, v19, v20
	v_cndmask_b32_e64 v18, v18, v19, s[24:25]
	v_max_f32_e32 v19, v18, v18
	v_max_f32_e32 v20, v6, v6
	v_max_f32_e32 v19, v19, v20
	v_cndmask_b32_e64 v18, v18, v19, s[22:23]
	v_max_f32_e32 v19, v18, v18
	v_max_f32_e32 v20, v7, v7
	;; [unrolled: 4-line block ×12, first 2 shown]
	v_max_f32_e32 v19, v19, v20
	v_cndmask_b32_e64 v18, v18, v19, s[0:1]
	v_mbcnt_hi_u32_b32 v19, -1, v71
	v_and_b32_e32 v20, 0x60, v19
	v_add_u32_e32 v20, 32, v20
	v_xor_b32_e32 v21, 16, v19
	v_cmp_lt_i32_e32 vcc, v21, v20
	s_mov_b32 s42, 0x3fb8aa3b
	s_mov_b32 s33, 0xc2ce8ed0
	v_cndmask_b32_e32 v21, v19, v21, vcc
	v_lshlrev_b32_e32 v21, 2, v21
	ds_bpermute_b32 v22, v21, v18
	v_max_f32_e32 v18, v18, v18
	s_mov_b32 s40, 0x42b17218
	s_waitcnt lgkmcnt(0)
	v_max_f32_e32 v22, v22, v22
	v_max_f32_e32 v18, v18, v22
	v_xor_b32_e32 v22, 8, v19
	v_cmp_lt_i32_e32 vcc, v22, v20
	s_nop 1
	v_cndmask_b32_e32 v22, v19, v22, vcc
	v_lshlrev_b32_e32 v22, 2, v22
	ds_bpermute_b32 v23, v22, v18
	s_waitcnt lgkmcnt(0)
	v_max_f32_e32 v23, v23, v23
	v_max_f32_e32 v18, v18, v23
	v_xor_b32_e32 v23, 4, v19
	v_cmp_lt_i32_e32 vcc, v23, v20
	s_nop 1
	v_cndmask_b32_e32 v23, v19, v23, vcc
	v_lshlrev_b32_e32 v23, 2, v23
	ds_bpermute_b32 v24, v23, v18
	;; [unrolled: 9-line block ×4, first 2 shown]
	s_waitcnt lgkmcnt(0)
	v_max_f32_e32 v20, v20, v20
	v_max_f32_e32 v18, v18, v20
	v_sub_f32_e32 v0, v0, v18
	v_mul_f32_e32 v20, 0x3fb8aa3b, v0
	v_fma_f32 v25, v0, s42, -v20
	v_rndne_f32_e32 v26, v20
	v_fmac_f32_e32 v25, 0x32a5705f, v0
	v_sub_f32_e32 v20, v20, v26
	v_sub_f32_e32 v1, v1, v18
	v_add_f32_e32 v20, v20, v25
	v_cvt_i32_f32_e32 v25, v26
	v_mul_f32_e32 v26, 0x3fb8aa3b, v1
	v_fma_f32 v27, v1, s42, -v26
	v_rndne_f32_e32 v28, v26
	v_exp_f32_e32 v20, v20
	v_fmac_f32_e32 v27, 0x32a5705f, v1
	v_sub_f32_e32 v26, v26, v28
	v_add_f32_e32 v26, v26, v27
	v_exp_f32_e32 v26, v26
	v_cvt_i32_f32_e32 v27, v28
	v_ldexp_f32 v20, v20, v25
	v_cmp_ngt_f32_e32 vcc, s33, v0
	v_mov_b32_e32 v25, 0x7f800000
	v_sub_f32_e32 v2, v2, v18
	v_cndmask_b32_e32 v20, 0, v20, vcc
	v_cmp_nlt_f32_e32 vcc, s40, v0
	v_sub_f32_e32 v3, v3, v18
	v_sub_f32_e32 v4, v4, v18
	v_cndmask_b32_e32 v0, v25, v20, vcc
	v_ldexp_f32 v20, v26, v27
	v_mul_f32_e32 v26, 0x3fb8aa3b, v2
	v_fma_f32 v27, v2, s42, -v26
	v_rndne_f32_e32 v28, v26
	v_fmac_f32_e32 v27, 0x32a5705f, v2
	v_sub_f32_e32 v26, v26, v28
	v_add_f32_e32 v26, v26, v27
	v_exp_f32_e32 v26, v26
	v_cvt_i32_f32_e32 v27, v28
	v_cmp_ngt_f32_e32 vcc, s33, v1
	v_cndmask_b32_e64 v0, 0, v0, s[36:37]
	v_sub_f32_e32 v5, v5, v18
	v_ldexp_f32 v26, v26, v27
	v_mul_f32_e32 v27, 0x3fb8aa3b, v3
	v_fma_f32 v28, v3, s42, -v27
	v_rndne_f32_e32 v29, v27
	v_fmac_f32_e32 v28, 0x32a5705f, v3
	v_sub_f32_e32 v27, v27, v29
	v_cndmask_b32_e32 v20, 0, v20, vcc
	v_cmp_nlt_f32_e32 vcc, s40, v1
	v_add_f32_e32 v27, v27, v28
	v_exp_f32_e32 v27, v27
	v_cndmask_b32_e32 v1, v25, v20, vcc
	v_cmp_ngt_f32_e32 vcc, s33, v2
	v_cvt_i32_f32_e32 v28, v29
	v_add_f32_e32 v20, v1, v0
	v_cndmask_b32_e32 v26, 0, v26, vcc
	v_cmp_nlt_f32_e32 vcc, s40, v2
	v_cndmask_b32_e64 v20, v0, v20, s[34:35]
	v_sub_f32_e32 v6, v6, v18
	v_cndmask_b32_e32 v2, v25, v26, vcc
	v_add_f32_e32 v26, v20, v2
	v_cndmask_b32_e64 v20, v20, v26, s[30:31]
	v_ldexp_f32 v26, v27, v28
	v_mul_f32_e32 v27, 0x3fb8aa3b, v4
	v_fma_f32 v28, v4, s42, -v27
	v_rndne_f32_e32 v29, v27
	v_fmac_f32_e32 v28, 0x32a5705f, v4
	v_sub_f32_e32 v27, v27, v29
	v_add_f32_e32 v27, v27, v28
	v_cmp_ngt_f32_e32 vcc, s33, v3
	v_exp_f32_e32 v27, v27
	v_cvt_i32_f32_e32 v28, v29
	v_cndmask_b32_e32 v26, 0, v26, vcc
	v_cmp_nlt_f32_e32 vcc, s40, v3
	v_sub_f32_e32 v7, v7, v18
	v_sub_f32_e32 v8, v8, v18
	v_cndmask_b32_e32 v3, v25, v26, vcc
	v_add_f32_e32 v26, v20, v3
	v_cndmask_b32_e64 v20, v20, v26, s[28:29]
	v_ldexp_f32 v26, v27, v28
	v_mul_f32_e32 v27, 0x3fb8aa3b, v5
	v_fma_f32 v28, v5, s42, -v27
	v_rndne_f32_e32 v29, v27
	v_fmac_f32_e32 v28, 0x32a5705f, v5
	v_sub_f32_e32 v27, v27, v29
	v_add_f32_e32 v27, v27, v28
	v_cmp_ngt_f32_e32 vcc, s33, v4
	v_exp_f32_e32 v27, v27
	v_cvt_i32_f32_e32 v28, v29
	v_cndmask_b32_e32 v26, 0, v26, vcc
	v_cmp_nlt_f32_e32 vcc, s40, v4
	v_sub_f32_e32 v9, v9, v18
	;; [unrolled: 17-line block ×6, first 2 shown]
	v_mul_f32_e32 v18, 0x3fb8aa3b, v17
	v_cndmask_b32_e32 v8, v25, v26, vcc
	v_add_f32_e32 v26, v20, v8
	v_cndmask_b32_e64 v20, v20, v26, s[18:19]
	v_ldexp_f32 v26, v27, v28
	v_mul_f32_e32 v27, 0x3fb8aa3b, v10
	v_fma_f32 v28, v10, s42, -v27
	v_rndne_f32_e32 v29, v27
	v_fmac_f32_e32 v28, 0x32a5705f, v10
	v_sub_f32_e32 v27, v27, v29
	v_add_f32_e32 v27, v27, v28
	v_cmp_ngt_f32_e32 vcc, s33, v9
	v_exp_f32_e32 v27, v27
	v_cvt_i32_f32_e32 v28, v29
	v_cndmask_b32_e32 v26, 0, v26, vcc
	v_cmp_nlt_f32_e32 vcc, s40, v9
	v_cndmask_b32_e64 v1, 0, v1, s[34:35]
	v_cndmask_b32_e64 v2, 0, v2, s[30:31]
	v_cndmask_b32_e32 v9, v25, v26, vcc
	v_add_f32_e32 v26, v20, v9
	v_cndmask_b32_e64 v20, v20, v26, s[16:17]
	v_ldexp_f32 v26, v27, v28
	v_mul_f32_e32 v27, 0x3fb8aa3b, v11
	v_fma_f32 v28, v11, s42, -v27
	v_rndne_f32_e32 v29, v27
	v_fmac_f32_e32 v28, 0x32a5705f, v11
	v_sub_f32_e32 v27, v27, v29
	v_add_f32_e32 v27, v27, v28
	v_cmp_ngt_f32_e32 vcc, s33, v10
	v_exp_f32_e32 v27, v27
	v_cvt_i32_f32_e32 v28, v29
	v_cndmask_b32_e32 v26, 0, v26, vcc
	v_cmp_nlt_f32_e32 vcc, s40, v10
	v_cndmask_b32_e64 v3, 0, v3, s[28:29]
	v_cndmask_b32_e64 v4, 0, v4, s[26:27]
	;; [unrolled: 17-line block ×7, first 2 shown]
	v_cndmask_b32_e32 v15, v25, v26, vcc
	v_add_f32_e32 v26, v20, v15
	v_cndmask_b32_e64 v20, v20, v26, s[4:5]
	v_ldexp_f32 v26, v27, v28
	v_fma_f32 v27, v17, s42, -v18
	v_rndne_f32_e32 v28, v18
	v_fmac_f32_e32 v27, 0x32a5705f, v17
	v_sub_f32_e32 v18, v18, v28
	v_add_f32_e32 v18, v18, v27
	v_exp_f32_e32 v18, v18
	v_cvt_i32_f32_e32 v27, v28
	v_cmp_ngt_f32_e32 vcc, s33, v16
	v_cndmask_b32_e64 v15, 0, v15, s[4:5]
	v_ldexp_f32 v18, v18, v27
	v_cndmask_b32_e32 v26, 0, v26, vcc
	v_cmp_nlt_f32_e32 vcc, s40, v16
	s_nop 1
	v_cndmask_b32_e32 v16, v25, v26, vcc
	v_cmp_ngt_f32_e32 vcc, s33, v17
	v_add_f32_e32 v26, v20, v16
	v_cndmask_b32_e64 v20, v20, v26, s[2:3]
	v_cndmask_b32_e32 v18, 0, v18, vcc
	v_cmp_nlt_f32_e32 vcc, s40, v17
	v_cndmask_b32_e64 v16, 0, v16, s[2:3]
	s_nop 0
	v_cndmask_b32_e32 v17, v25, v18, vcc
	v_add_f32_e32 v18, v20, v17
	v_cndmask_b32_e64 v18, v20, v18, s[0:1]
	ds_bpermute_b32 v20, v21, v18
	v_cndmask_b32_e64 v17, 0, v17, s[0:1]
	s_waitcnt lgkmcnt(0)
	v_add_f32_e32 v18, v18, v20
	ds_bpermute_b32 v20, v22, v18
	s_waitcnt lgkmcnt(0)
	v_add_f32_e32 v18, v18, v20
	ds_bpermute_b32 v20, v23, v18
	;; [unrolled: 3-line block ×4, first 2 shown]
	s_waitcnt lgkmcnt(0)
	v_add_f32_e32 v18, v18, v19
	v_div_scale_f32 v19, s[44:45], v18, v18, 1.0
	v_rcp_f32_e32 v20, v19
	s_nop 0
	v_fma_f32 v21, -v19, v20, 1.0
	v_fmac_f32_e32 v20, v21, v20
	v_div_scale_f32 v21, vcc, 1.0, v18, 1.0
	v_mul_f32_e32 v22, v21, v20
	v_fma_f32 v23, -v19, v22, v21
	v_fmac_f32_e32 v22, v23, v20
	v_fma_f32 v19, -v19, v22, v21
	v_div_fmas_f32 v19, v19, v20, v22
	v_div_fixup_f32 v18, v19, v18, 1.0
	v_mul_f32_e32 v19, v0, v18
	v_cndmask_b32_e64 v0, v0, v19, s[36:37]
	v_mul_f32_e32 v19, v1, v18
	v_cndmask_b32_e64 v1, v1, v19, s[34:35]
	;; [unrolled: 2-line block ×16, first 2 shown]
	v_mul_f32_e32 v19, v16, v18
	v_mul_f32_e32 v18, v17, v18
	v_cndmask_b32_e64 v16, v16, v19, s[2:3]
	v_cndmask_b32_e64 v17, v17, v18, s[0:1]
.LBB21_42:
	v_mul_lo_u32 v20, v74, s41
	v_mov_b32_e32 v18, s38
	v_mov_b32_e32 v19, s39
	v_ashrrev_i32_e32 v21, 31, v20
	v_lshl_add_u64 v[18:19], v[20:21], 2, v[18:19]
	v_cmp_gt_i32_e32 vcc, s41, v75
	s_and_saveexec_b64 s[0:1], vcc
	s_cbranch_execnz .LBB21_62
; %bb.43:
	s_or_b64 exec, exec, s[0:1]
	v_cmp_gt_i32_e32 vcc, s41, v92
	s_and_saveexec_b64 s[0:1], vcc
	s_cbranch_execnz .LBB21_63
.LBB21_44:
	s_or_b64 exec, exec, s[0:1]
	v_cmp_gt_i32_e32 vcc, s41, v91
	s_and_saveexec_b64 s[0:1], vcc
	s_cbranch_execnz .LBB21_64
.LBB21_45:
	s_or_b64 exec, exec, s[0:1]
	v_cmp_gt_i32_e32 vcc, s41, v90
	s_and_saveexec_b64 s[0:1], vcc
	s_cbranch_execnz .LBB21_65
.LBB21_46:
	s_or_b64 exec, exec, s[0:1]
	v_cmp_gt_i32_e32 vcc, s41, v89
	s_and_saveexec_b64 s[0:1], vcc
	s_cbranch_execnz .LBB21_66
.LBB21_47:
	s_or_b64 exec, exec, s[0:1]
	v_cmp_gt_i32_e32 vcc, s41, v88
	s_and_saveexec_b64 s[0:1], vcc
	s_cbranch_execnz .LBB21_67
.LBB21_48:
	s_or_b64 exec, exec, s[0:1]
	v_cmp_gt_i32_e32 vcc, s41, v87
	s_and_saveexec_b64 s[0:1], vcc
	s_cbranch_execnz .LBB21_68
.LBB21_49:
	s_or_b64 exec, exec, s[0:1]
	v_cmp_gt_i32_e32 vcc, s41, v86
	s_and_saveexec_b64 s[0:1], vcc
	s_cbranch_execnz .LBB21_69
.LBB21_50:
	s_or_b64 exec, exec, s[0:1]
	v_cmp_gt_i32_e32 vcc, s41, v85
	s_and_saveexec_b64 s[0:1], vcc
	s_cbranch_execnz .LBB21_70
.LBB21_51:
	s_or_b64 exec, exec, s[0:1]
	v_cmp_gt_i32_e32 vcc, s41, v84
	s_and_saveexec_b64 s[0:1], vcc
	s_cbranch_execnz .LBB21_71
.LBB21_52:
	s_or_b64 exec, exec, s[0:1]
	v_cmp_gt_i32_e32 vcc, s41, v83
	s_and_saveexec_b64 s[0:1], vcc
	s_cbranch_execnz .LBB21_72
.LBB21_53:
	s_or_b64 exec, exec, s[0:1]
	v_cmp_gt_i32_e32 vcc, s41, v82
	s_and_saveexec_b64 s[0:1], vcc
	s_cbranch_execnz .LBB21_73
.LBB21_54:
	s_or_b64 exec, exec, s[0:1]
	v_cmp_gt_i32_e32 vcc, s41, v81
	s_and_saveexec_b64 s[0:1], vcc
	s_cbranch_execnz .LBB21_74
.LBB21_55:
	s_or_b64 exec, exec, s[0:1]
	v_cmp_gt_i32_e32 vcc, s41, v80
	s_and_saveexec_b64 s[0:1], vcc
	s_cbranch_execnz .LBB21_75
.LBB21_56:
	s_or_b64 exec, exec, s[0:1]
	v_cmp_gt_i32_e32 vcc, s41, v79
	s_and_saveexec_b64 s[0:1], vcc
	s_cbranch_execnz .LBB21_76
.LBB21_57:
	s_or_b64 exec, exec, s[0:1]
	v_cmp_gt_i32_e32 vcc, s41, v78
	s_and_saveexec_b64 s[0:1], vcc
	s_cbranch_execnz .LBB21_77
.LBB21_58:
	s_or_b64 exec, exec, s[0:1]
	v_cmp_gt_i32_e32 vcc, s41, v77
	s_and_saveexec_b64 s[0:1], vcc
	s_cbranch_execnz .LBB21_78
.LBB21_59:
	s_or_b64 exec, exec, s[0:1]
	v_cmp_gt_i32_e32 vcc, s41, v76
	s_and_b64 exec, exec, vcc
	s_cbranch_execz .LBB21_61
.LBB21_60:
	v_mov_b32_e32 v71, 0
	v_lshl_add_u64 v[0:1], v[18:19], 0, v[70:71]
	v_mul_f32_e32 v2, s43, v17
	global_store_dword v[0:1], v2, off offset:2176
.LBB21_61:
	s_endpgm
.LBB21_62:
	v_mov_b32_e32 v71, 0
	v_lshl_add_u64 v[20:21], v[18:19], 0, v[70:71]
	v_mul_f32_e32 v0, s43, v0
	global_store_dword v[20:21], v0, off
	s_or_b64 exec, exec, s[0:1]
	v_cmp_gt_i32_e32 vcc, s41, v92
	s_and_saveexec_b64 s[0:1], vcc
	s_cbranch_execz .LBB21_44
.LBB21_63:
	v_mov_b32_e32 v71, 0
	v_lshl_add_u64 v[20:21], v[18:19], 0, v[70:71]
	v_mul_f32_e32 v0, s43, v1
	global_store_dword v[20:21], v0, off offset:128
	s_or_b64 exec, exec, s[0:1]
	v_cmp_gt_i32_e32 vcc, s41, v91
	s_and_saveexec_b64 s[0:1], vcc
	s_cbranch_execz .LBB21_45
.LBB21_64:
	v_mov_b32_e32 v71, 0
	v_lshl_add_u64 v[0:1], v[18:19], 0, v[70:71]
	v_mul_f32_e32 v2, s43, v2
	global_store_dword v[0:1], v2, off offset:256
	s_or_b64 exec, exec, s[0:1]
	v_cmp_gt_i32_e32 vcc, s41, v90
	s_and_saveexec_b64 s[0:1], vcc
	s_cbranch_execz .LBB21_46
.LBB21_65:
	v_mov_b32_e32 v71, 0
	v_lshl_add_u64 v[0:1], v[18:19], 0, v[70:71]
	v_mul_f32_e32 v2, s43, v3
	global_store_dword v[0:1], v2, off offset:384
	s_or_b64 exec, exec, s[0:1]
	v_cmp_gt_i32_e32 vcc, s41, v89
	s_and_saveexec_b64 s[0:1], vcc
	s_cbranch_execz .LBB21_47
.LBB21_66:
	v_mov_b32_e32 v71, 0
	v_lshl_add_u64 v[0:1], v[18:19], 0, v[70:71]
	v_mul_f32_e32 v2, s43, v4
	global_store_dword v[0:1], v2, off offset:512
	s_or_b64 exec, exec, s[0:1]
	v_cmp_gt_i32_e32 vcc, s41, v88
	s_and_saveexec_b64 s[0:1], vcc
	s_cbranch_execz .LBB21_48
.LBB21_67:
	v_mov_b32_e32 v71, 0
	v_lshl_add_u64 v[0:1], v[18:19], 0, v[70:71]
	v_mul_f32_e32 v2, s43, v5
	global_store_dword v[0:1], v2, off offset:640
	s_or_b64 exec, exec, s[0:1]
	v_cmp_gt_i32_e32 vcc, s41, v87
	s_and_saveexec_b64 s[0:1], vcc
	s_cbranch_execz .LBB21_49
.LBB21_68:
	v_mov_b32_e32 v71, 0
	v_lshl_add_u64 v[0:1], v[18:19], 0, v[70:71]
	v_mul_f32_e32 v2, s43, v6
	global_store_dword v[0:1], v2, off offset:768
	s_or_b64 exec, exec, s[0:1]
	v_cmp_gt_i32_e32 vcc, s41, v86
	s_and_saveexec_b64 s[0:1], vcc
	s_cbranch_execz .LBB21_50
.LBB21_69:
	v_mov_b32_e32 v71, 0
	v_lshl_add_u64 v[0:1], v[18:19], 0, v[70:71]
	v_mul_f32_e32 v2, s43, v7
	global_store_dword v[0:1], v2, off offset:896
	s_or_b64 exec, exec, s[0:1]
	v_cmp_gt_i32_e32 vcc, s41, v85
	s_and_saveexec_b64 s[0:1], vcc
	s_cbranch_execz .LBB21_51
.LBB21_70:
	v_mov_b32_e32 v71, 0
	v_lshl_add_u64 v[0:1], v[18:19], 0, v[70:71]
	v_mul_f32_e32 v2, s43, v8
	global_store_dword v[0:1], v2, off offset:1024
	s_or_b64 exec, exec, s[0:1]
	v_cmp_gt_i32_e32 vcc, s41, v84
	s_and_saveexec_b64 s[0:1], vcc
	s_cbranch_execz .LBB21_52
.LBB21_71:
	v_mov_b32_e32 v71, 0
	v_lshl_add_u64 v[0:1], v[18:19], 0, v[70:71]
	v_mul_f32_e32 v2, s43, v9
	global_store_dword v[0:1], v2, off offset:1152
	s_or_b64 exec, exec, s[0:1]
	v_cmp_gt_i32_e32 vcc, s41, v83
	s_and_saveexec_b64 s[0:1], vcc
	s_cbranch_execz .LBB21_53
.LBB21_72:
	v_mov_b32_e32 v71, 0
	v_lshl_add_u64 v[0:1], v[18:19], 0, v[70:71]
	v_mul_f32_e32 v2, s43, v10
	global_store_dword v[0:1], v2, off offset:1280
	s_or_b64 exec, exec, s[0:1]
	v_cmp_gt_i32_e32 vcc, s41, v82
	s_and_saveexec_b64 s[0:1], vcc
	s_cbranch_execz .LBB21_54
.LBB21_73:
	v_mov_b32_e32 v71, 0
	v_lshl_add_u64 v[0:1], v[18:19], 0, v[70:71]
	v_mul_f32_e32 v2, s43, v11
	global_store_dword v[0:1], v2, off offset:1408
	s_or_b64 exec, exec, s[0:1]
	v_cmp_gt_i32_e32 vcc, s41, v81
	s_and_saveexec_b64 s[0:1], vcc
	s_cbranch_execz .LBB21_55
.LBB21_74:
	v_mov_b32_e32 v71, 0
	v_lshl_add_u64 v[0:1], v[18:19], 0, v[70:71]
	v_mul_f32_e32 v2, s43, v12
	global_store_dword v[0:1], v2, off offset:1536
	s_or_b64 exec, exec, s[0:1]
	v_cmp_gt_i32_e32 vcc, s41, v80
	s_and_saveexec_b64 s[0:1], vcc
	s_cbranch_execz .LBB21_56
.LBB21_75:
	v_mov_b32_e32 v71, 0
	v_lshl_add_u64 v[0:1], v[18:19], 0, v[70:71]
	v_mul_f32_e32 v2, s43, v13
	global_store_dword v[0:1], v2, off offset:1664
	s_or_b64 exec, exec, s[0:1]
	v_cmp_gt_i32_e32 vcc, s41, v79
	s_and_saveexec_b64 s[0:1], vcc
	s_cbranch_execz .LBB21_57
.LBB21_76:
	v_mov_b32_e32 v71, 0
	v_lshl_add_u64 v[0:1], v[18:19], 0, v[70:71]
	v_mul_f32_e32 v2, s43, v14
	global_store_dword v[0:1], v2, off offset:1792
	s_or_b64 exec, exec, s[0:1]
	v_cmp_gt_i32_e32 vcc, s41, v78
	s_and_saveexec_b64 s[0:1], vcc
	s_cbranch_execz .LBB21_58
.LBB21_77:
	v_mov_b32_e32 v71, 0
	v_lshl_add_u64 v[0:1], v[18:19], 0, v[70:71]
	v_mul_f32_e32 v2, s43, v15
	global_store_dword v[0:1], v2, off offset:1920
	s_or_b64 exec, exec, s[0:1]
	v_cmp_gt_i32_e32 vcc, s41, v77
	s_and_saveexec_b64 s[0:1], vcc
	s_cbranch_execz .LBB21_59
.LBB21_78:
	v_mov_b32_e32 v71, 0
	v_lshl_add_u64 v[0:1], v[18:19], 0, v[70:71]
	v_mul_f32_e32 v2, s43, v16
	global_store_dword v[0:1], v2, off offset:2048
	s_or_b64 exec, exec, s[0:1]
	v_cmp_gt_i32_e32 vcc, s41, v76
	s_and_b64 exec, exec, vcc
	s_cbranch_execnz .LBB21_60
	s_branch .LBB21_61
	.section	.rodata,"a",@progbits
	.p2align	6, 0x0
	.amdhsa_kernel _Z13topk_moe_cudaILi576ELb0EEvPKfPfPiS2_iiff15topk_moe_config
		.amdhsa_group_segment_fixed_size 0
		.amdhsa_private_segment_fixed_size 0
		.amdhsa_kernarg_size 312
		.amdhsa_user_sgpr_count 2
		.amdhsa_user_sgpr_dispatch_ptr 0
		.amdhsa_user_sgpr_queue_ptr 0
		.amdhsa_user_sgpr_kernarg_segment_ptr 1
		.amdhsa_user_sgpr_dispatch_id 0
		.amdhsa_user_sgpr_kernarg_preload_length 0
		.amdhsa_user_sgpr_kernarg_preload_offset 0
		.amdhsa_user_sgpr_private_segment_size 0
		.amdhsa_uses_dynamic_stack 0
		.amdhsa_enable_private_segment 0
		.amdhsa_system_sgpr_workgroup_id_x 1
		.amdhsa_system_sgpr_workgroup_id_y 0
		.amdhsa_system_sgpr_workgroup_id_z 0
		.amdhsa_system_sgpr_workgroup_info 0
		.amdhsa_system_vgpr_workitem_id 1
		.amdhsa_next_free_vgpr 99
		.amdhsa_next_free_sgpr 50
		.amdhsa_accum_offset 100
		.amdhsa_reserve_vcc 1
		.amdhsa_float_round_mode_32 0
		.amdhsa_float_round_mode_16_64 0
		.amdhsa_float_denorm_mode_32 3
		.amdhsa_float_denorm_mode_16_64 3
		.amdhsa_dx10_clamp 1
		.amdhsa_ieee_mode 1
		.amdhsa_fp16_overflow 0
		.amdhsa_tg_split 0
		.amdhsa_exception_fp_ieee_invalid_op 0
		.amdhsa_exception_fp_denorm_src 0
		.amdhsa_exception_fp_ieee_div_zero 0
		.amdhsa_exception_fp_ieee_overflow 0
		.amdhsa_exception_fp_ieee_underflow 0
		.amdhsa_exception_fp_ieee_inexact 0
		.amdhsa_exception_int_div_zero 0
	.end_amdhsa_kernel
	.section	.text._Z13topk_moe_cudaILi576ELb0EEvPKfPfPiS2_iiff15topk_moe_config,"axG",@progbits,_Z13topk_moe_cudaILi576ELb0EEvPKfPfPiS2_iiff15topk_moe_config,comdat
.Lfunc_end21:
	.size	_Z13topk_moe_cudaILi576ELb0EEvPKfPfPiS2_iiff15topk_moe_config, .Lfunc_end21-_Z13topk_moe_cudaILi576ELb0EEvPKfPfPiS2_iiff15topk_moe_config
                                        ; -- End function
	.set _Z13topk_moe_cudaILi576ELb0EEvPKfPfPiS2_iiff15topk_moe_config.num_vgpr, 99
	.set _Z13topk_moe_cudaILi576ELb0EEvPKfPfPiS2_iiff15topk_moe_config.num_agpr, 0
	.set _Z13topk_moe_cudaILi576ELb0EEvPKfPfPiS2_iiff15topk_moe_config.numbered_sgpr, 50
	.set _Z13topk_moe_cudaILi576ELb0EEvPKfPfPiS2_iiff15topk_moe_config.num_named_barrier, 0
	.set _Z13topk_moe_cudaILi576ELb0EEvPKfPfPiS2_iiff15topk_moe_config.private_seg_size, 0
	.set _Z13topk_moe_cudaILi576ELb0EEvPKfPfPiS2_iiff15topk_moe_config.uses_vcc, 1
	.set _Z13topk_moe_cudaILi576ELb0EEvPKfPfPiS2_iiff15topk_moe_config.uses_flat_scratch, 0
	.set _Z13topk_moe_cudaILi576ELb0EEvPKfPfPiS2_iiff15topk_moe_config.has_dyn_sized_stack, 0
	.set _Z13topk_moe_cudaILi576ELb0EEvPKfPfPiS2_iiff15topk_moe_config.has_recursion, 0
	.set _Z13topk_moe_cudaILi576ELb0EEvPKfPfPiS2_iiff15topk_moe_config.has_indirect_call, 0
	.section	.AMDGPU.csdata,"",@progbits
; Kernel info:
; codeLenInByte = 12124
; TotalNumSgprs: 56
; NumVgprs: 99
; NumAgprs: 0
; TotalNumVgprs: 99
; ScratchSize: 0
; MemoryBound: 0
; FloatMode: 240
; IeeeMode: 1
; LDSByteSize: 0 bytes/workgroup (compile time only)
; SGPRBlocks: 6
; VGPRBlocks: 12
; NumSGPRsForWavesPerEU: 56
; NumVGPRsForWavesPerEU: 99
; AccumOffset: 100
; Occupancy: 4
; WaveLimiterHint : 1
; COMPUTE_PGM_RSRC2:SCRATCH_EN: 0
; COMPUTE_PGM_RSRC2:USER_SGPR: 2
; COMPUTE_PGM_RSRC2:TRAP_HANDLER: 0
; COMPUTE_PGM_RSRC2:TGID_X_EN: 1
; COMPUTE_PGM_RSRC2:TGID_Y_EN: 0
; COMPUTE_PGM_RSRC2:TGID_Z_EN: 0
; COMPUTE_PGM_RSRC2:TIDIG_COMP_CNT: 1
; COMPUTE_PGM_RSRC3_GFX90A:ACCUM_OFFSET: 24
; COMPUTE_PGM_RSRC3_GFX90A:TG_SPLIT: 0
	.section	.AMDGPU.gpr_maximums,"",@progbits
	.set amdgpu.max_num_vgpr, 0
	.set amdgpu.max_num_agpr, 0
	.set amdgpu.max_num_sgpr, 0
	.section	.AMDGPU.csdata,"",@progbits
	.type	__hip_cuid_2fec080520d5e689,@object ; @__hip_cuid_2fec080520d5e689
	.section	.bss,"aw",@nobits
	.globl	__hip_cuid_2fec080520d5e689
__hip_cuid_2fec080520d5e689:
	.byte	0                               ; 0x0
	.size	__hip_cuid_2fec080520d5e689, 1

	.ident	"AMD clang version 22.0.0git (https://github.com/RadeonOpenCompute/llvm-project roc-7.2.4 26084 f58b06dce1f9c15707c5f808fd002e18c2accf7e)"
	.section	".note.GNU-stack","",@progbits
	.addrsig
	.addrsig_sym __hip_cuid_2fec080520d5e689
	.amdgpu_metadata
---
amdhsa.kernels:
  - .agpr_count:     0
    .args:
      - .address_space:  global
        .offset:         0
        .size:           8
        .value_kind:     global_buffer
      - .address_space:  global
        .offset:         8
        .size:           8
        .value_kind:     global_buffer
      - .address_space:  global
        .offset:         16
        .size:           8
        .value_kind:     global_buffer
      - .address_space:  global
        .offset:         24
        .size:           8
        .value_kind:     global_buffer
      - .offset:         32
        .size:           4
        .value_kind:     by_value
      - .offset:         36
        .size:           4
        .value_kind:     by_value
      - .offset:         40
        .size:           4
        .value_kind:     by_value
      - .offset:         44
        .size:           4
        .value_kind:     by_value
      - .offset:         48
        .size:           3
        .value_kind:     by_value
      - .offset:         56
        .size:           4
        .value_kind:     hidden_block_count_x
      - .offset:         60
        .size:           4
        .value_kind:     hidden_block_count_y
      - .offset:         64
        .size:           4
        .value_kind:     hidden_block_count_z
      - .offset:         68
        .size:           2
        .value_kind:     hidden_group_size_x
      - .offset:         70
        .size:           2
        .value_kind:     hidden_group_size_y
      - .offset:         72
        .size:           2
        .value_kind:     hidden_group_size_z
      - .offset:         74
        .size:           2
        .value_kind:     hidden_remainder_x
      - .offset:         76
        .size:           2
        .value_kind:     hidden_remainder_y
      - .offset:         78
        .size:           2
        .value_kind:     hidden_remainder_z
      - .offset:         96
        .size:           8
        .value_kind:     hidden_global_offset_x
      - .offset:         104
        .size:           8
        .value_kind:     hidden_global_offset_y
      - .offset:         112
        .size:           8
        .value_kind:     hidden_global_offset_z
      - .offset:         120
        .size:           2
        .value_kind:     hidden_grid_dims
    .group_segment_fixed_size: 0
    .kernarg_segment_align: 8
    .kernarg_segment_size: 312
    .language:       OpenCL C
    .language_version:
      - 2
      - 0
    .max_flat_workgroup_size: 128
    .name:           _Z13topk_moe_cudaILi1ELb1EEvPKfPfPiS2_iiff15topk_moe_config
    .private_segment_fixed_size: 0
    .sgpr_count:     22
    .sgpr_spill_count: 0
    .symbol:         _Z13topk_moe_cudaILi1ELb1EEvPKfPfPiS2_iiff15topk_moe_config.kd
    .uniform_work_group_size: 1
    .uses_dynamic_stack: false
    .vgpr_count:     25
    .vgpr_spill_count: 0
    .wavefront_size: 64
  - .agpr_count:     0
    .args:
      - .address_space:  global
        .offset:         0
        .size:           8
        .value_kind:     global_buffer
      - .address_space:  global
        .offset:         8
        .size:           8
        .value_kind:     global_buffer
      - .address_space:  global
        .offset:         16
        .size:           8
        .value_kind:     global_buffer
      - .address_space:  global
        .offset:         24
        .size:           8
        .value_kind:     global_buffer
      - .offset:         32
        .size:           4
        .value_kind:     by_value
      - .offset:         36
        .size:           4
        .value_kind:     by_value
      - .offset:         40
        .size:           4
        .value_kind:     by_value
      - .offset:         44
        .size:           4
        .value_kind:     by_value
      - .offset:         48
        .size:           3
        .value_kind:     by_value
      - .offset:         56
        .size:           4
        .value_kind:     hidden_block_count_x
      - .offset:         60
        .size:           4
        .value_kind:     hidden_block_count_y
      - .offset:         64
        .size:           4
        .value_kind:     hidden_block_count_z
      - .offset:         68
        .size:           2
        .value_kind:     hidden_group_size_x
      - .offset:         70
        .size:           2
        .value_kind:     hidden_group_size_y
      - .offset:         72
        .size:           2
        .value_kind:     hidden_group_size_z
      - .offset:         74
        .size:           2
        .value_kind:     hidden_remainder_x
      - .offset:         76
        .size:           2
        .value_kind:     hidden_remainder_y
      - .offset:         78
        .size:           2
        .value_kind:     hidden_remainder_z
      - .offset:         96
        .size:           8
        .value_kind:     hidden_global_offset_x
      - .offset:         104
        .size:           8
        .value_kind:     hidden_global_offset_y
      - .offset:         112
        .size:           8
        .value_kind:     hidden_global_offset_z
      - .offset:         120
        .size:           2
        .value_kind:     hidden_grid_dims
    .group_segment_fixed_size: 0
    .kernarg_segment_align: 8
    .kernarg_segment_size: 312
    .language:       OpenCL C
    .language_version:
      - 2
      - 0
    .max_flat_workgroup_size: 128
    .name:           _Z13topk_moe_cudaILi2ELb1EEvPKfPfPiS2_iiff15topk_moe_config
    .private_segment_fixed_size: 0
    .sgpr_count:     22
    .sgpr_spill_count: 0
    .symbol:         _Z13topk_moe_cudaILi2ELb1EEvPKfPfPiS2_iiff15topk_moe_config.kd
    .uniform_work_group_size: 1
    .uses_dynamic_stack: false
    .vgpr_count:     26
    .vgpr_spill_count: 0
    .wavefront_size: 64
  - .agpr_count:     0
    .args:
      - .address_space:  global
        .offset:         0
        .size:           8
        .value_kind:     global_buffer
      - .address_space:  global
        .offset:         8
        .size:           8
        .value_kind:     global_buffer
      - .address_space:  global
        .offset:         16
        .size:           8
        .value_kind:     global_buffer
      - .address_space:  global
        .offset:         24
        .size:           8
        .value_kind:     global_buffer
      - .offset:         32
        .size:           4
        .value_kind:     by_value
      - .offset:         36
        .size:           4
        .value_kind:     by_value
      - .offset:         40
        .size:           4
        .value_kind:     by_value
      - .offset:         44
        .size:           4
        .value_kind:     by_value
      - .offset:         48
        .size:           3
        .value_kind:     by_value
      - .offset:         56
        .size:           4
        .value_kind:     hidden_block_count_x
      - .offset:         60
        .size:           4
        .value_kind:     hidden_block_count_y
      - .offset:         64
        .size:           4
        .value_kind:     hidden_block_count_z
      - .offset:         68
        .size:           2
        .value_kind:     hidden_group_size_x
      - .offset:         70
        .size:           2
        .value_kind:     hidden_group_size_y
      - .offset:         72
        .size:           2
        .value_kind:     hidden_group_size_z
      - .offset:         74
        .size:           2
        .value_kind:     hidden_remainder_x
      - .offset:         76
        .size:           2
        .value_kind:     hidden_remainder_y
      - .offset:         78
        .size:           2
        .value_kind:     hidden_remainder_z
      - .offset:         96
        .size:           8
        .value_kind:     hidden_global_offset_x
      - .offset:         104
        .size:           8
        .value_kind:     hidden_global_offset_y
      - .offset:         112
        .size:           8
        .value_kind:     hidden_global_offset_z
      - .offset:         120
        .size:           2
        .value_kind:     hidden_grid_dims
    .group_segment_fixed_size: 0
    .kernarg_segment_align: 8
    .kernarg_segment_size: 312
    .language:       OpenCL C
    .language_version:
      - 2
      - 0
    .max_flat_workgroup_size: 128
    .name:           _Z13topk_moe_cudaILi4ELb1EEvPKfPfPiS2_iiff15topk_moe_config
    .private_segment_fixed_size: 0
    .sgpr_count:     22
    .sgpr_spill_count: 0
    .symbol:         _Z13topk_moe_cudaILi4ELb1EEvPKfPfPiS2_iiff15topk_moe_config.kd
    .uniform_work_group_size: 1
    .uses_dynamic_stack: false
    .vgpr_count:     26
    .vgpr_spill_count: 0
    .wavefront_size: 64
  - .agpr_count:     0
    .args:
      - .address_space:  global
        .offset:         0
        .size:           8
        .value_kind:     global_buffer
      - .address_space:  global
        .offset:         8
        .size:           8
        .value_kind:     global_buffer
      - .address_space:  global
        .offset:         16
        .size:           8
        .value_kind:     global_buffer
      - .address_space:  global
        .offset:         24
        .size:           8
        .value_kind:     global_buffer
      - .offset:         32
        .size:           4
        .value_kind:     by_value
      - .offset:         36
        .size:           4
        .value_kind:     by_value
      - .offset:         40
        .size:           4
        .value_kind:     by_value
      - .offset:         44
        .size:           4
        .value_kind:     by_value
      - .offset:         48
        .size:           3
        .value_kind:     by_value
      - .offset:         56
        .size:           4
        .value_kind:     hidden_block_count_x
      - .offset:         60
        .size:           4
        .value_kind:     hidden_block_count_y
      - .offset:         64
        .size:           4
        .value_kind:     hidden_block_count_z
      - .offset:         68
        .size:           2
        .value_kind:     hidden_group_size_x
      - .offset:         70
        .size:           2
        .value_kind:     hidden_group_size_y
      - .offset:         72
        .size:           2
        .value_kind:     hidden_group_size_z
      - .offset:         74
        .size:           2
        .value_kind:     hidden_remainder_x
      - .offset:         76
        .size:           2
        .value_kind:     hidden_remainder_y
      - .offset:         78
        .size:           2
        .value_kind:     hidden_remainder_z
      - .offset:         96
        .size:           8
        .value_kind:     hidden_global_offset_x
      - .offset:         104
        .size:           8
        .value_kind:     hidden_global_offset_y
      - .offset:         112
        .size:           8
        .value_kind:     hidden_global_offset_z
      - .offset:         120
        .size:           2
        .value_kind:     hidden_grid_dims
    .group_segment_fixed_size: 0
    .kernarg_segment_align: 8
    .kernarg_segment_size: 312
    .language:       OpenCL C
    .language_version:
      - 2
      - 0
    .max_flat_workgroup_size: 128
    .name:           _Z13topk_moe_cudaILi8ELb1EEvPKfPfPiS2_iiff15topk_moe_config
    .private_segment_fixed_size: 0
    .sgpr_count:     22
    .sgpr_spill_count: 0
    .symbol:         _Z13topk_moe_cudaILi8ELb1EEvPKfPfPiS2_iiff15topk_moe_config.kd
    .uniform_work_group_size: 1
    .uses_dynamic_stack: false
    .vgpr_count:     26
    .vgpr_spill_count: 0
    .wavefront_size: 64
  - .agpr_count:     0
    .args:
      - .address_space:  global
        .offset:         0
        .size:           8
        .value_kind:     global_buffer
      - .address_space:  global
        .offset:         8
        .size:           8
        .value_kind:     global_buffer
      - .address_space:  global
        .offset:         16
        .size:           8
        .value_kind:     global_buffer
      - .address_space:  global
        .offset:         24
        .size:           8
        .value_kind:     global_buffer
      - .offset:         32
        .size:           4
        .value_kind:     by_value
      - .offset:         36
        .size:           4
        .value_kind:     by_value
      - .offset:         40
        .size:           4
        .value_kind:     by_value
      - .offset:         44
        .size:           4
        .value_kind:     by_value
      - .offset:         48
        .size:           3
        .value_kind:     by_value
      - .offset:         56
        .size:           4
        .value_kind:     hidden_block_count_x
      - .offset:         60
        .size:           4
        .value_kind:     hidden_block_count_y
      - .offset:         64
        .size:           4
        .value_kind:     hidden_block_count_z
      - .offset:         68
        .size:           2
        .value_kind:     hidden_group_size_x
      - .offset:         70
        .size:           2
        .value_kind:     hidden_group_size_y
      - .offset:         72
        .size:           2
        .value_kind:     hidden_group_size_z
      - .offset:         74
        .size:           2
        .value_kind:     hidden_remainder_x
      - .offset:         76
        .size:           2
        .value_kind:     hidden_remainder_y
      - .offset:         78
        .size:           2
        .value_kind:     hidden_remainder_z
      - .offset:         96
        .size:           8
        .value_kind:     hidden_global_offset_x
      - .offset:         104
        .size:           8
        .value_kind:     hidden_global_offset_y
      - .offset:         112
        .size:           8
        .value_kind:     hidden_global_offset_z
      - .offset:         120
        .size:           2
        .value_kind:     hidden_grid_dims
    .group_segment_fixed_size: 0
    .kernarg_segment_align: 8
    .kernarg_segment_size: 312
    .language:       OpenCL C
    .language_version:
      - 2
      - 0
    .max_flat_workgroup_size: 128
    .name:           _Z13topk_moe_cudaILi16ELb1EEvPKfPfPiS2_iiff15topk_moe_config
    .private_segment_fixed_size: 0
    .sgpr_count:     22
    .sgpr_spill_count: 0
    .symbol:         _Z13topk_moe_cudaILi16ELb1EEvPKfPfPiS2_iiff15topk_moe_config.kd
    .uniform_work_group_size: 1
    .uses_dynamic_stack: false
    .vgpr_count:     26
    .vgpr_spill_count: 0
    .wavefront_size: 64
  - .agpr_count:     0
    .args:
      - .address_space:  global
        .offset:         0
        .size:           8
        .value_kind:     global_buffer
      - .address_space:  global
        .offset:         8
        .size:           8
        .value_kind:     global_buffer
      - .address_space:  global
        .offset:         16
        .size:           8
        .value_kind:     global_buffer
      - .address_space:  global
        .offset:         24
        .size:           8
        .value_kind:     global_buffer
      - .offset:         32
        .size:           4
        .value_kind:     by_value
      - .offset:         36
        .size:           4
        .value_kind:     by_value
      - .offset:         40
        .size:           4
        .value_kind:     by_value
      - .offset:         44
        .size:           4
        .value_kind:     by_value
      - .offset:         48
        .size:           3
        .value_kind:     by_value
      - .offset:         56
        .size:           4
        .value_kind:     hidden_block_count_x
      - .offset:         60
        .size:           4
        .value_kind:     hidden_block_count_y
      - .offset:         64
        .size:           4
        .value_kind:     hidden_block_count_z
      - .offset:         68
        .size:           2
        .value_kind:     hidden_group_size_x
      - .offset:         70
        .size:           2
        .value_kind:     hidden_group_size_y
      - .offset:         72
        .size:           2
        .value_kind:     hidden_group_size_z
      - .offset:         74
        .size:           2
        .value_kind:     hidden_remainder_x
      - .offset:         76
        .size:           2
        .value_kind:     hidden_remainder_y
      - .offset:         78
        .size:           2
        .value_kind:     hidden_remainder_z
      - .offset:         96
        .size:           8
        .value_kind:     hidden_global_offset_x
      - .offset:         104
        .size:           8
        .value_kind:     hidden_global_offset_y
      - .offset:         112
        .size:           8
        .value_kind:     hidden_global_offset_z
      - .offset:         120
        .size:           2
        .value_kind:     hidden_grid_dims
    .group_segment_fixed_size: 0
    .kernarg_segment_align: 8
    .kernarg_segment_size: 312
    .language:       OpenCL C
    .language_version:
      - 2
      - 0
    .max_flat_workgroup_size: 128
    .name:           _Z13topk_moe_cudaILi32ELb1EEvPKfPfPiS2_iiff15topk_moe_config
    .private_segment_fixed_size: 0
    .sgpr_count:     24
    .sgpr_spill_count: 0
    .symbol:         _Z13topk_moe_cudaILi32ELb1EEvPKfPfPiS2_iiff15topk_moe_config.kd
    .uniform_work_group_size: 1
    .uses_dynamic_stack: false
    .vgpr_count:     26
    .vgpr_spill_count: 0
    .wavefront_size: 64
  - .agpr_count:     0
    .args:
      - .address_space:  global
        .offset:         0
        .size:           8
        .value_kind:     global_buffer
      - .address_space:  global
        .offset:         8
        .size:           8
        .value_kind:     global_buffer
      - .address_space:  global
        .offset:         16
        .size:           8
        .value_kind:     global_buffer
      - .address_space:  global
        .offset:         24
        .size:           8
        .value_kind:     global_buffer
      - .offset:         32
        .size:           4
        .value_kind:     by_value
      - .offset:         36
        .size:           4
        .value_kind:     by_value
      - .offset:         40
        .size:           4
        .value_kind:     by_value
      - .offset:         44
        .size:           4
        .value_kind:     by_value
      - .offset:         48
        .size:           3
        .value_kind:     by_value
      - .offset:         56
        .size:           4
        .value_kind:     hidden_block_count_x
      - .offset:         60
        .size:           4
        .value_kind:     hidden_block_count_y
      - .offset:         64
        .size:           4
        .value_kind:     hidden_block_count_z
      - .offset:         68
        .size:           2
        .value_kind:     hidden_group_size_x
      - .offset:         70
        .size:           2
        .value_kind:     hidden_group_size_y
      - .offset:         72
        .size:           2
        .value_kind:     hidden_group_size_z
      - .offset:         74
        .size:           2
        .value_kind:     hidden_remainder_x
      - .offset:         76
        .size:           2
        .value_kind:     hidden_remainder_y
      - .offset:         78
        .size:           2
        .value_kind:     hidden_remainder_z
      - .offset:         96
        .size:           8
        .value_kind:     hidden_global_offset_x
      - .offset:         104
        .size:           8
        .value_kind:     hidden_global_offset_y
      - .offset:         112
        .size:           8
        .value_kind:     hidden_global_offset_z
      - .offset:         120
        .size:           2
        .value_kind:     hidden_grid_dims
    .group_segment_fixed_size: 0
    .kernarg_segment_align: 8
    .kernarg_segment_size: 312
    .language:       OpenCL C
    .language_version:
      - 2
      - 0
    .max_flat_workgroup_size: 128
    .name:           _Z13topk_moe_cudaILi64ELb1EEvPKfPfPiS2_iiff15topk_moe_config
    .private_segment_fixed_size: 0
    .sgpr_count:     24
    .sgpr_spill_count: 0
    .symbol:         _Z13topk_moe_cudaILi64ELb1EEvPKfPfPiS2_iiff15topk_moe_config.kd
    .uniform_work_group_size: 1
    .uses_dynamic_stack: false
    .vgpr_count:     28
    .vgpr_spill_count: 0
    .wavefront_size: 64
  - .agpr_count:     0
    .args:
      - .address_space:  global
        .offset:         0
        .size:           8
        .value_kind:     global_buffer
      - .address_space:  global
        .offset:         8
        .size:           8
        .value_kind:     global_buffer
      - .address_space:  global
        .offset:         16
        .size:           8
        .value_kind:     global_buffer
      - .address_space:  global
        .offset:         24
        .size:           8
        .value_kind:     global_buffer
      - .offset:         32
        .size:           4
        .value_kind:     by_value
      - .offset:         36
        .size:           4
        .value_kind:     by_value
      - .offset:         40
        .size:           4
        .value_kind:     by_value
      - .offset:         44
        .size:           4
        .value_kind:     by_value
      - .offset:         48
        .size:           3
        .value_kind:     by_value
      - .offset:         56
        .size:           4
        .value_kind:     hidden_block_count_x
      - .offset:         60
        .size:           4
        .value_kind:     hidden_block_count_y
      - .offset:         64
        .size:           4
        .value_kind:     hidden_block_count_z
      - .offset:         68
        .size:           2
        .value_kind:     hidden_group_size_x
      - .offset:         70
        .size:           2
        .value_kind:     hidden_group_size_y
      - .offset:         72
        .size:           2
        .value_kind:     hidden_group_size_z
      - .offset:         74
        .size:           2
        .value_kind:     hidden_remainder_x
      - .offset:         76
        .size:           2
        .value_kind:     hidden_remainder_y
      - .offset:         78
        .size:           2
        .value_kind:     hidden_remainder_z
      - .offset:         96
        .size:           8
        .value_kind:     hidden_global_offset_x
      - .offset:         104
        .size:           8
        .value_kind:     hidden_global_offset_y
      - .offset:         112
        .size:           8
        .value_kind:     hidden_global_offset_z
      - .offset:         120
        .size:           2
        .value_kind:     hidden_grid_dims
    .group_segment_fixed_size: 0
    .kernarg_segment_align: 8
    .kernarg_segment_size: 312
    .language:       OpenCL C
    .language_version:
      - 2
      - 0
    .max_flat_workgroup_size: 128
    .name:           _Z13topk_moe_cudaILi128ELb1EEvPKfPfPiS2_iiff15topk_moe_config
    .private_segment_fixed_size: 0
    .sgpr_count:     26
    .sgpr_spill_count: 0
    .symbol:         _Z13topk_moe_cudaILi128ELb1EEvPKfPfPiS2_iiff15topk_moe_config.kd
    .uniform_work_group_size: 1
    .uses_dynamic_stack: false
    .vgpr_count:     34
    .vgpr_spill_count: 0
    .wavefront_size: 64
  - .agpr_count:     0
    .args:
      - .address_space:  global
        .offset:         0
        .size:           8
        .value_kind:     global_buffer
      - .address_space:  global
        .offset:         8
        .size:           8
        .value_kind:     global_buffer
      - .address_space:  global
        .offset:         16
        .size:           8
        .value_kind:     global_buffer
      - .address_space:  global
        .offset:         24
        .size:           8
        .value_kind:     global_buffer
      - .offset:         32
        .size:           4
        .value_kind:     by_value
      - .offset:         36
        .size:           4
        .value_kind:     by_value
      - .offset:         40
        .size:           4
        .value_kind:     by_value
      - .offset:         44
        .size:           4
        .value_kind:     by_value
      - .offset:         48
        .size:           3
        .value_kind:     by_value
      - .offset:         56
        .size:           4
        .value_kind:     hidden_block_count_x
      - .offset:         60
        .size:           4
        .value_kind:     hidden_block_count_y
      - .offset:         64
        .size:           4
        .value_kind:     hidden_block_count_z
      - .offset:         68
        .size:           2
        .value_kind:     hidden_group_size_x
      - .offset:         70
        .size:           2
        .value_kind:     hidden_group_size_y
      - .offset:         72
        .size:           2
        .value_kind:     hidden_group_size_z
      - .offset:         74
        .size:           2
        .value_kind:     hidden_remainder_x
      - .offset:         76
        .size:           2
        .value_kind:     hidden_remainder_y
      - .offset:         78
        .size:           2
        .value_kind:     hidden_remainder_z
      - .offset:         96
        .size:           8
        .value_kind:     hidden_global_offset_x
      - .offset:         104
        .size:           8
        .value_kind:     hidden_global_offset_y
      - .offset:         112
        .size:           8
        .value_kind:     hidden_global_offset_z
      - .offset:         120
        .size:           2
        .value_kind:     hidden_grid_dims
    .group_segment_fixed_size: 0
    .kernarg_segment_align: 8
    .kernarg_segment_size: 312
    .language:       OpenCL C
    .language_version:
      - 2
      - 0
    .max_flat_workgroup_size: 128
    .name:           _Z13topk_moe_cudaILi256ELb1EEvPKfPfPiS2_iiff15topk_moe_config
    .private_segment_fixed_size: 0
    .sgpr_count:     34
    .sgpr_spill_count: 0
    .symbol:         _Z13topk_moe_cudaILi256ELb1EEvPKfPfPiS2_iiff15topk_moe_config.kd
    .uniform_work_group_size: 1
    .uses_dynamic_stack: false
    .vgpr_count:     50
    .vgpr_spill_count: 0
    .wavefront_size: 64
  - .agpr_count:     0
    .args:
      - .address_space:  global
        .offset:         0
        .size:           8
        .value_kind:     global_buffer
      - .address_space:  global
        .offset:         8
        .size:           8
        .value_kind:     global_buffer
      - .address_space:  global
        .offset:         16
        .size:           8
        .value_kind:     global_buffer
      - .address_space:  global
        .offset:         24
        .size:           8
        .value_kind:     global_buffer
      - .offset:         32
        .size:           4
        .value_kind:     by_value
      - .offset:         36
        .size:           4
        .value_kind:     by_value
      - .offset:         40
        .size:           4
        .value_kind:     by_value
      - .offset:         44
        .size:           4
        .value_kind:     by_value
      - .offset:         48
        .size:           3
        .value_kind:     by_value
      - .offset:         56
        .size:           4
        .value_kind:     hidden_block_count_x
      - .offset:         60
        .size:           4
        .value_kind:     hidden_block_count_y
      - .offset:         64
        .size:           4
        .value_kind:     hidden_block_count_z
      - .offset:         68
        .size:           2
        .value_kind:     hidden_group_size_x
      - .offset:         70
        .size:           2
        .value_kind:     hidden_group_size_y
      - .offset:         72
        .size:           2
        .value_kind:     hidden_group_size_z
      - .offset:         74
        .size:           2
        .value_kind:     hidden_remainder_x
      - .offset:         76
        .size:           2
        .value_kind:     hidden_remainder_y
      - .offset:         78
        .size:           2
        .value_kind:     hidden_remainder_z
      - .offset:         96
        .size:           8
        .value_kind:     hidden_global_offset_x
      - .offset:         104
        .size:           8
        .value_kind:     hidden_global_offset_y
      - .offset:         112
        .size:           8
        .value_kind:     hidden_global_offset_z
      - .offset:         120
        .size:           2
        .value_kind:     hidden_grid_dims
    .group_segment_fixed_size: 0
    .kernarg_segment_align: 8
    .kernarg_segment_size: 312
    .language:       OpenCL C
    .language_version:
      - 2
      - 0
    .max_flat_workgroup_size: 128
    .name:           _Z13topk_moe_cudaILi512ELb1EEvPKfPfPiS2_iiff15topk_moe_config
    .private_segment_fixed_size: 0
    .sgpr_count:     54
    .sgpr_spill_count: 0
    .symbol:         _Z13topk_moe_cudaILi512ELb1EEvPKfPfPiS2_iiff15topk_moe_config.kd
    .uniform_work_group_size: 1
    .uses_dynamic_stack: false
    .vgpr_count:     93
    .vgpr_spill_count: 0
    .wavefront_size: 64
  - .agpr_count:     0
    .args:
      - .address_space:  global
        .offset:         0
        .size:           8
        .value_kind:     global_buffer
      - .address_space:  global
        .offset:         8
        .size:           8
        .value_kind:     global_buffer
      - .address_space:  global
        .offset:         16
        .size:           8
        .value_kind:     global_buffer
      - .address_space:  global
        .offset:         24
        .size:           8
        .value_kind:     global_buffer
      - .offset:         32
        .size:           4
        .value_kind:     by_value
      - .offset:         36
        .size:           4
        .value_kind:     by_value
      - .offset:         40
        .size:           4
        .value_kind:     by_value
      - .offset:         44
        .size:           4
        .value_kind:     by_value
      - .offset:         48
        .size:           3
        .value_kind:     by_value
      - .offset:         56
        .size:           4
        .value_kind:     hidden_block_count_x
      - .offset:         60
        .size:           4
        .value_kind:     hidden_block_count_y
      - .offset:         64
        .size:           4
        .value_kind:     hidden_block_count_z
      - .offset:         68
        .size:           2
        .value_kind:     hidden_group_size_x
      - .offset:         70
        .size:           2
        .value_kind:     hidden_group_size_y
      - .offset:         72
        .size:           2
        .value_kind:     hidden_group_size_z
      - .offset:         74
        .size:           2
        .value_kind:     hidden_remainder_x
      - .offset:         76
        .size:           2
        .value_kind:     hidden_remainder_y
      - .offset:         78
        .size:           2
        .value_kind:     hidden_remainder_z
      - .offset:         96
        .size:           8
        .value_kind:     hidden_global_offset_x
      - .offset:         104
        .size:           8
        .value_kind:     hidden_global_offset_y
      - .offset:         112
        .size:           8
        .value_kind:     hidden_global_offset_z
      - .offset:         120
        .size:           2
        .value_kind:     hidden_grid_dims
    .group_segment_fixed_size: 0
    .kernarg_segment_align: 8
    .kernarg_segment_size: 312
    .language:       OpenCL C
    .language_version:
      - 2
      - 0
    .max_flat_workgroup_size: 128
    .name:           _Z13topk_moe_cudaILi576ELb1EEvPKfPfPiS2_iiff15topk_moe_config
    .private_segment_fixed_size: 0
    .sgpr_count:     54
    .sgpr_spill_count: 0
    .symbol:         _Z13topk_moe_cudaILi576ELb1EEvPKfPfPiS2_iiff15topk_moe_config.kd
    .uniform_work_group_size: 1
    .uses_dynamic_stack: false
    .vgpr_count:     117
    .vgpr_spill_count: 0
    .wavefront_size: 64
  - .agpr_count:     0
    .args:
      - .address_space:  global
        .offset:         0
        .size:           8
        .value_kind:     global_buffer
      - .address_space:  global
        .offset:         8
        .size:           8
        .value_kind:     global_buffer
      - .address_space:  global
        .offset:         16
        .size:           8
        .value_kind:     global_buffer
      - .address_space:  global
        .offset:         24
        .size:           8
        .value_kind:     global_buffer
      - .offset:         32
        .size:           4
        .value_kind:     by_value
      - .offset:         36
        .size:           4
        .value_kind:     by_value
      - .offset:         40
        .size:           4
        .value_kind:     by_value
      - .offset:         44
        .size:           4
        .value_kind:     by_value
      - .offset:         48
        .size:           3
        .value_kind:     by_value
      - .offset:         56
        .size:           4
        .value_kind:     hidden_block_count_x
      - .offset:         60
        .size:           4
        .value_kind:     hidden_block_count_y
      - .offset:         64
        .size:           4
        .value_kind:     hidden_block_count_z
      - .offset:         68
        .size:           2
        .value_kind:     hidden_group_size_x
      - .offset:         70
        .size:           2
        .value_kind:     hidden_group_size_y
      - .offset:         72
        .size:           2
        .value_kind:     hidden_group_size_z
      - .offset:         74
        .size:           2
        .value_kind:     hidden_remainder_x
      - .offset:         76
        .size:           2
        .value_kind:     hidden_remainder_y
      - .offset:         78
        .size:           2
        .value_kind:     hidden_remainder_z
      - .offset:         96
        .size:           8
        .value_kind:     hidden_global_offset_x
      - .offset:         104
        .size:           8
        .value_kind:     hidden_global_offset_y
      - .offset:         112
        .size:           8
        .value_kind:     hidden_global_offset_z
      - .offset:         120
        .size:           2
        .value_kind:     hidden_grid_dims
    .group_segment_fixed_size: 0
    .kernarg_segment_align: 8
    .kernarg_segment_size: 312
    .language:       OpenCL C
    .language_version:
      - 2
      - 0
    .max_flat_workgroup_size: 128
    .name:           _Z13topk_moe_cudaILi1ELb0EEvPKfPfPiS2_iiff15topk_moe_config
    .private_segment_fixed_size: 0
    .sgpr_count:     22
    .sgpr_spill_count: 0
    .symbol:         _Z13topk_moe_cudaILi1ELb0EEvPKfPfPiS2_iiff15topk_moe_config.kd
    .uniform_work_group_size: 1
    .uses_dynamic_stack: false
    .vgpr_count:     19
    .vgpr_spill_count: 0
    .wavefront_size: 64
  - .agpr_count:     0
    .args:
      - .address_space:  global
        .offset:         0
        .size:           8
        .value_kind:     global_buffer
      - .address_space:  global
        .offset:         8
        .size:           8
        .value_kind:     global_buffer
      - .address_space:  global
        .offset:         16
        .size:           8
        .value_kind:     global_buffer
      - .address_space:  global
        .offset:         24
        .size:           8
        .value_kind:     global_buffer
      - .offset:         32
        .size:           4
        .value_kind:     by_value
      - .offset:         36
        .size:           4
        .value_kind:     by_value
      - .offset:         40
        .size:           4
        .value_kind:     by_value
      - .offset:         44
        .size:           4
        .value_kind:     by_value
      - .offset:         48
        .size:           3
        .value_kind:     by_value
      - .offset:         56
        .size:           4
        .value_kind:     hidden_block_count_x
      - .offset:         60
        .size:           4
        .value_kind:     hidden_block_count_y
      - .offset:         64
        .size:           4
        .value_kind:     hidden_block_count_z
      - .offset:         68
        .size:           2
        .value_kind:     hidden_group_size_x
      - .offset:         70
        .size:           2
        .value_kind:     hidden_group_size_y
      - .offset:         72
        .size:           2
        .value_kind:     hidden_group_size_z
      - .offset:         74
        .size:           2
        .value_kind:     hidden_remainder_x
      - .offset:         76
        .size:           2
        .value_kind:     hidden_remainder_y
      - .offset:         78
        .size:           2
        .value_kind:     hidden_remainder_z
      - .offset:         96
        .size:           8
        .value_kind:     hidden_global_offset_x
      - .offset:         104
        .size:           8
        .value_kind:     hidden_global_offset_y
      - .offset:         112
        .size:           8
        .value_kind:     hidden_global_offset_z
      - .offset:         120
        .size:           2
        .value_kind:     hidden_grid_dims
    .group_segment_fixed_size: 0
    .kernarg_segment_align: 8
    .kernarg_segment_size: 312
    .language:       OpenCL C
    .language_version:
      - 2
      - 0
    .max_flat_workgroup_size: 128
    .name:           _Z13topk_moe_cudaILi2ELb0EEvPKfPfPiS2_iiff15topk_moe_config
    .private_segment_fixed_size: 0
    .sgpr_count:     22
    .sgpr_spill_count: 0
    .symbol:         _Z13topk_moe_cudaILi2ELb0EEvPKfPfPiS2_iiff15topk_moe_config.kd
    .uniform_work_group_size: 1
    .uses_dynamic_stack: false
    .vgpr_count:     20
    .vgpr_spill_count: 0
    .wavefront_size: 64
  - .agpr_count:     0
    .args:
      - .address_space:  global
        .offset:         0
        .size:           8
        .value_kind:     global_buffer
      - .address_space:  global
        .offset:         8
        .size:           8
        .value_kind:     global_buffer
      - .address_space:  global
        .offset:         16
        .size:           8
        .value_kind:     global_buffer
      - .address_space:  global
        .offset:         24
        .size:           8
        .value_kind:     global_buffer
      - .offset:         32
        .size:           4
        .value_kind:     by_value
      - .offset:         36
        .size:           4
        .value_kind:     by_value
      - .offset:         40
        .size:           4
        .value_kind:     by_value
      - .offset:         44
        .size:           4
        .value_kind:     by_value
      - .offset:         48
        .size:           3
        .value_kind:     by_value
      - .offset:         56
        .size:           4
        .value_kind:     hidden_block_count_x
      - .offset:         60
        .size:           4
        .value_kind:     hidden_block_count_y
      - .offset:         64
        .size:           4
        .value_kind:     hidden_block_count_z
      - .offset:         68
        .size:           2
        .value_kind:     hidden_group_size_x
      - .offset:         70
        .size:           2
        .value_kind:     hidden_group_size_y
      - .offset:         72
        .size:           2
        .value_kind:     hidden_group_size_z
      - .offset:         74
        .size:           2
        .value_kind:     hidden_remainder_x
      - .offset:         76
        .size:           2
        .value_kind:     hidden_remainder_y
      - .offset:         78
        .size:           2
        .value_kind:     hidden_remainder_z
      - .offset:         96
        .size:           8
        .value_kind:     hidden_global_offset_x
      - .offset:         104
        .size:           8
        .value_kind:     hidden_global_offset_y
      - .offset:         112
        .size:           8
        .value_kind:     hidden_global_offset_z
      - .offset:         120
        .size:           2
        .value_kind:     hidden_grid_dims
    .group_segment_fixed_size: 0
    .kernarg_segment_align: 8
    .kernarg_segment_size: 312
    .language:       OpenCL C
    .language_version:
      - 2
      - 0
    .max_flat_workgroup_size: 128
    .name:           _Z13topk_moe_cudaILi4ELb0EEvPKfPfPiS2_iiff15topk_moe_config
    .private_segment_fixed_size: 0
    .sgpr_count:     22
    .sgpr_spill_count: 0
    .symbol:         _Z13topk_moe_cudaILi4ELb0EEvPKfPfPiS2_iiff15topk_moe_config.kd
    .uniform_work_group_size: 1
    .uses_dynamic_stack: false
    .vgpr_count:     20
    .vgpr_spill_count: 0
    .wavefront_size: 64
  - .agpr_count:     0
    .args:
      - .address_space:  global
        .offset:         0
        .size:           8
        .value_kind:     global_buffer
      - .address_space:  global
        .offset:         8
        .size:           8
        .value_kind:     global_buffer
      - .address_space:  global
        .offset:         16
        .size:           8
        .value_kind:     global_buffer
      - .address_space:  global
        .offset:         24
        .size:           8
        .value_kind:     global_buffer
      - .offset:         32
        .size:           4
        .value_kind:     by_value
      - .offset:         36
        .size:           4
        .value_kind:     by_value
      - .offset:         40
        .size:           4
        .value_kind:     by_value
      - .offset:         44
        .size:           4
        .value_kind:     by_value
      - .offset:         48
        .size:           3
        .value_kind:     by_value
      - .offset:         56
        .size:           4
        .value_kind:     hidden_block_count_x
      - .offset:         60
        .size:           4
        .value_kind:     hidden_block_count_y
      - .offset:         64
        .size:           4
        .value_kind:     hidden_block_count_z
      - .offset:         68
        .size:           2
        .value_kind:     hidden_group_size_x
      - .offset:         70
        .size:           2
        .value_kind:     hidden_group_size_y
      - .offset:         72
        .size:           2
        .value_kind:     hidden_group_size_z
      - .offset:         74
        .size:           2
        .value_kind:     hidden_remainder_x
      - .offset:         76
        .size:           2
        .value_kind:     hidden_remainder_y
      - .offset:         78
        .size:           2
        .value_kind:     hidden_remainder_z
      - .offset:         96
        .size:           8
        .value_kind:     hidden_global_offset_x
      - .offset:         104
        .size:           8
        .value_kind:     hidden_global_offset_y
      - .offset:         112
        .size:           8
        .value_kind:     hidden_global_offset_z
      - .offset:         120
        .size:           2
        .value_kind:     hidden_grid_dims
    .group_segment_fixed_size: 0
    .kernarg_segment_align: 8
    .kernarg_segment_size: 312
    .language:       OpenCL C
    .language_version:
      - 2
      - 0
    .max_flat_workgroup_size: 128
    .name:           _Z13topk_moe_cudaILi8ELb0EEvPKfPfPiS2_iiff15topk_moe_config
    .private_segment_fixed_size: 0
    .sgpr_count:     22
    .sgpr_spill_count: 0
    .symbol:         _Z13topk_moe_cudaILi8ELb0EEvPKfPfPiS2_iiff15topk_moe_config.kd
    .uniform_work_group_size: 1
    .uses_dynamic_stack: false
    .vgpr_count:     20
    .vgpr_spill_count: 0
    .wavefront_size: 64
  - .agpr_count:     0
    .args:
      - .address_space:  global
        .offset:         0
        .size:           8
        .value_kind:     global_buffer
      - .address_space:  global
        .offset:         8
        .size:           8
        .value_kind:     global_buffer
      - .address_space:  global
        .offset:         16
        .size:           8
        .value_kind:     global_buffer
      - .address_space:  global
        .offset:         24
        .size:           8
        .value_kind:     global_buffer
      - .offset:         32
        .size:           4
        .value_kind:     by_value
      - .offset:         36
        .size:           4
        .value_kind:     by_value
      - .offset:         40
        .size:           4
        .value_kind:     by_value
      - .offset:         44
        .size:           4
        .value_kind:     by_value
      - .offset:         48
        .size:           3
        .value_kind:     by_value
      - .offset:         56
        .size:           4
        .value_kind:     hidden_block_count_x
      - .offset:         60
        .size:           4
        .value_kind:     hidden_block_count_y
      - .offset:         64
        .size:           4
        .value_kind:     hidden_block_count_z
      - .offset:         68
        .size:           2
        .value_kind:     hidden_group_size_x
      - .offset:         70
        .size:           2
        .value_kind:     hidden_group_size_y
      - .offset:         72
        .size:           2
        .value_kind:     hidden_group_size_z
      - .offset:         74
        .size:           2
        .value_kind:     hidden_remainder_x
      - .offset:         76
        .size:           2
        .value_kind:     hidden_remainder_y
      - .offset:         78
        .size:           2
        .value_kind:     hidden_remainder_z
      - .offset:         96
        .size:           8
        .value_kind:     hidden_global_offset_x
      - .offset:         104
        .size:           8
        .value_kind:     hidden_global_offset_y
      - .offset:         112
        .size:           8
        .value_kind:     hidden_global_offset_z
      - .offset:         120
        .size:           2
        .value_kind:     hidden_grid_dims
    .group_segment_fixed_size: 0
    .kernarg_segment_align: 8
    .kernarg_segment_size: 312
    .language:       OpenCL C
    .language_version:
      - 2
      - 0
    .max_flat_workgroup_size: 128
    .name:           _Z13topk_moe_cudaILi16ELb0EEvPKfPfPiS2_iiff15topk_moe_config
    .private_segment_fixed_size: 0
    .sgpr_count:     22
    .sgpr_spill_count: 0
    .symbol:         _Z13topk_moe_cudaILi16ELb0EEvPKfPfPiS2_iiff15topk_moe_config.kd
    .uniform_work_group_size: 1
    .uses_dynamic_stack: false
    .vgpr_count:     20
    .vgpr_spill_count: 0
    .wavefront_size: 64
  - .agpr_count:     0
    .args:
      - .address_space:  global
        .offset:         0
        .size:           8
        .value_kind:     global_buffer
      - .address_space:  global
        .offset:         8
        .size:           8
        .value_kind:     global_buffer
      - .address_space:  global
        .offset:         16
        .size:           8
        .value_kind:     global_buffer
      - .address_space:  global
        .offset:         24
        .size:           8
        .value_kind:     global_buffer
      - .offset:         32
        .size:           4
        .value_kind:     by_value
      - .offset:         36
        .size:           4
        .value_kind:     by_value
      - .offset:         40
        .size:           4
        .value_kind:     by_value
      - .offset:         44
        .size:           4
        .value_kind:     by_value
      - .offset:         48
        .size:           3
        .value_kind:     by_value
      - .offset:         56
        .size:           4
        .value_kind:     hidden_block_count_x
      - .offset:         60
        .size:           4
        .value_kind:     hidden_block_count_y
      - .offset:         64
        .size:           4
        .value_kind:     hidden_block_count_z
      - .offset:         68
        .size:           2
        .value_kind:     hidden_group_size_x
      - .offset:         70
        .size:           2
        .value_kind:     hidden_group_size_y
      - .offset:         72
        .size:           2
        .value_kind:     hidden_group_size_z
      - .offset:         74
        .size:           2
        .value_kind:     hidden_remainder_x
      - .offset:         76
        .size:           2
        .value_kind:     hidden_remainder_y
      - .offset:         78
        .size:           2
        .value_kind:     hidden_remainder_z
      - .offset:         96
        .size:           8
        .value_kind:     hidden_global_offset_x
      - .offset:         104
        .size:           8
        .value_kind:     hidden_global_offset_y
      - .offset:         112
        .size:           8
        .value_kind:     hidden_global_offset_z
      - .offset:         120
        .size:           2
        .value_kind:     hidden_grid_dims
    .group_segment_fixed_size: 0
    .kernarg_segment_align: 8
    .kernarg_segment_size: 312
    .language:       OpenCL C
    .language_version:
      - 2
      - 0
    .max_flat_workgroup_size: 128
    .name:           _Z13topk_moe_cudaILi32ELb0EEvPKfPfPiS2_iiff15topk_moe_config
    .private_segment_fixed_size: 0
    .sgpr_count:     22
    .sgpr_spill_count: 0
    .symbol:         _Z13topk_moe_cudaILi32ELb0EEvPKfPfPiS2_iiff15topk_moe_config.kd
    .uniform_work_group_size: 1
    .uses_dynamic_stack: false
    .vgpr_count:     20
    .vgpr_spill_count: 0
    .wavefront_size: 64
  - .agpr_count:     0
    .args:
      - .address_space:  global
        .offset:         0
        .size:           8
        .value_kind:     global_buffer
      - .address_space:  global
        .offset:         8
        .size:           8
        .value_kind:     global_buffer
      - .address_space:  global
        .offset:         16
        .size:           8
        .value_kind:     global_buffer
      - .address_space:  global
        .offset:         24
        .size:           8
        .value_kind:     global_buffer
      - .offset:         32
        .size:           4
        .value_kind:     by_value
      - .offset:         36
        .size:           4
        .value_kind:     by_value
      - .offset:         40
        .size:           4
        .value_kind:     by_value
      - .offset:         44
        .size:           4
        .value_kind:     by_value
      - .offset:         48
        .size:           3
        .value_kind:     by_value
      - .offset:         56
        .size:           4
        .value_kind:     hidden_block_count_x
      - .offset:         60
        .size:           4
        .value_kind:     hidden_block_count_y
      - .offset:         64
        .size:           4
        .value_kind:     hidden_block_count_z
      - .offset:         68
        .size:           2
        .value_kind:     hidden_group_size_x
      - .offset:         70
        .size:           2
        .value_kind:     hidden_group_size_y
      - .offset:         72
        .size:           2
        .value_kind:     hidden_group_size_z
      - .offset:         74
        .size:           2
        .value_kind:     hidden_remainder_x
      - .offset:         76
        .size:           2
        .value_kind:     hidden_remainder_y
      - .offset:         78
        .size:           2
        .value_kind:     hidden_remainder_z
      - .offset:         96
        .size:           8
        .value_kind:     hidden_global_offset_x
      - .offset:         104
        .size:           8
        .value_kind:     hidden_global_offset_y
      - .offset:         112
        .size:           8
        .value_kind:     hidden_global_offset_z
      - .offset:         120
        .size:           2
        .value_kind:     hidden_grid_dims
    .group_segment_fixed_size: 0
    .kernarg_segment_align: 8
    .kernarg_segment_size: 312
    .language:       OpenCL C
    .language_version:
      - 2
      - 0
    .max_flat_workgroup_size: 128
    .name:           _Z13topk_moe_cudaILi64ELb0EEvPKfPfPiS2_iiff15topk_moe_config
    .private_segment_fixed_size: 0
    .sgpr_count:     22
    .sgpr_spill_count: 0
    .symbol:         _Z13topk_moe_cudaILi64ELb0EEvPKfPfPiS2_iiff15topk_moe_config.kd
    .uniform_work_group_size: 1
    .uses_dynamic_stack: false
    .vgpr_count:     22
    .vgpr_spill_count: 0
    .wavefront_size: 64
  - .agpr_count:     0
    .args:
      - .address_space:  global
        .offset:         0
        .size:           8
        .value_kind:     global_buffer
      - .address_space:  global
        .offset:         8
        .size:           8
        .value_kind:     global_buffer
      - .address_space:  global
        .offset:         16
        .size:           8
        .value_kind:     global_buffer
      - .address_space:  global
        .offset:         24
        .size:           8
        .value_kind:     global_buffer
      - .offset:         32
        .size:           4
        .value_kind:     by_value
      - .offset:         36
        .size:           4
        .value_kind:     by_value
      - .offset:         40
        .size:           4
        .value_kind:     by_value
      - .offset:         44
        .size:           4
        .value_kind:     by_value
      - .offset:         48
        .size:           3
        .value_kind:     by_value
      - .offset:         56
        .size:           4
        .value_kind:     hidden_block_count_x
      - .offset:         60
        .size:           4
        .value_kind:     hidden_block_count_y
      - .offset:         64
        .size:           4
        .value_kind:     hidden_block_count_z
      - .offset:         68
        .size:           2
        .value_kind:     hidden_group_size_x
      - .offset:         70
        .size:           2
        .value_kind:     hidden_group_size_y
      - .offset:         72
        .size:           2
        .value_kind:     hidden_group_size_z
      - .offset:         74
        .size:           2
        .value_kind:     hidden_remainder_x
      - .offset:         76
        .size:           2
        .value_kind:     hidden_remainder_y
      - .offset:         78
        .size:           2
        .value_kind:     hidden_remainder_z
      - .offset:         96
        .size:           8
        .value_kind:     hidden_global_offset_x
      - .offset:         104
        .size:           8
        .value_kind:     hidden_global_offset_y
      - .offset:         112
        .size:           8
        .value_kind:     hidden_global_offset_z
      - .offset:         120
        .size:           2
        .value_kind:     hidden_grid_dims
    .group_segment_fixed_size: 0
    .kernarg_segment_align: 8
    .kernarg_segment_size: 312
    .language:       OpenCL C
    .language_version:
      - 2
      - 0
    .max_flat_workgroup_size: 128
    .name:           _Z13topk_moe_cudaILi128ELb0EEvPKfPfPiS2_iiff15topk_moe_config
    .private_segment_fixed_size: 0
    .sgpr_count:     22
    .sgpr_spill_count: 0
    .symbol:         _Z13topk_moe_cudaILi128ELb0EEvPKfPfPiS2_iiff15topk_moe_config.kd
    .uniform_work_group_size: 1
    .uses_dynamic_stack: false
    .vgpr_count:     28
    .vgpr_spill_count: 0
    .wavefront_size: 64
  - .agpr_count:     0
    .args:
      - .address_space:  global
        .offset:         0
        .size:           8
        .value_kind:     global_buffer
      - .address_space:  global
        .offset:         8
        .size:           8
        .value_kind:     global_buffer
      - .address_space:  global
        .offset:         16
        .size:           8
        .value_kind:     global_buffer
      - .address_space:  global
        .offset:         24
        .size:           8
        .value_kind:     global_buffer
      - .offset:         32
        .size:           4
        .value_kind:     by_value
      - .offset:         36
        .size:           4
        .value_kind:     by_value
      - .offset:         40
        .size:           4
        .value_kind:     by_value
      - .offset:         44
        .size:           4
        .value_kind:     by_value
      - .offset:         48
        .size:           3
        .value_kind:     by_value
      - .offset:         56
        .size:           4
        .value_kind:     hidden_block_count_x
      - .offset:         60
        .size:           4
        .value_kind:     hidden_block_count_y
      - .offset:         64
        .size:           4
        .value_kind:     hidden_block_count_z
      - .offset:         68
        .size:           2
        .value_kind:     hidden_group_size_x
      - .offset:         70
        .size:           2
        .value_kind:     hidden_group_size_y
      - .offset:         72
        .size:           2
        .value_kind:     hidden_group_size_z
      - .offset:         74
        .size:           2
        .value_kind:     hidden_remainder_x
      - .offset:         76
        .size:           2
        .value_kind:     hidden_remainder_y
      - .offset:         78
        .size:           2
        .value_kind:     hidden_remainder_z
      - .offset:         96
        .size:           8
        .value_kind:     hidden_global_offset_x
      - .offset:         104
        .size:           8
        .value_kind:     hidden_global_offset_y
      - .offset:         112
        .size:           8
        .value_kind:     hidden_global_offset_z
      - .offset:         120
        .size:           2
        .value_kind:     hidden_grid_dims
    .group_segment_fixed_size: 0
    .kernarg_segment_align: 8
    .kernarg_segment_size: 312
    .language:       OpenCL C
    .language_version:
      - 2
      - 0
    .max_flat_workgroup_size: 128
    .name:           _Z13topk_moe_cudaILi256ELb0EEvPKfPfPiS2_iiff15topk_moe_config
    .private_segment_fixed_size: 0
    .sgpr_count:     34
    .sgpr_spill_count: 0
    .symbol:         _Z13topk_moe_cudaILi256ELb0EEvPKfPfPiS2_iiff15topk_moe_config.kd
    .uniform_work_group_size: 1
    .uses_dynamic_stack: false
    .vgpr_count:     40
    .vgpr_spill_count: 0
    .wavefront_size: 64
  - .agpr_count:     0
    .args:
      - .address_space:  global
        .offset:         0
        .size:           8
        .value_kind:     global_buffer
      - .address_space:  global
        .offset:         8
        .size:           8
        .value_kind:     global_buffer
      - .address_space:  global
        .offset:         16
        .size:           8
        .value_kind:     global_buffer
      - .address_space:  global
        .offset:         24
        .size:           8
        .value_kind:     global_buffer
      - .offset:         32
        .size:           4
        .value_kind:     by_value
      - .offset:         36
        .size:           4
        .value_kind:     by_value
      - .offset:         40
        .size:           4
        .value_kind:     by_value
      - .offset:         44
        .size:           4
        .value_kind:     by_value
      - .offset:         48
        .size:           3
        .value_kind:     by_value
      - .offset:         56
        .size:           4
        .value_kind:     hidden_block_count_x
      - .offset:         60
        .size:           4
        .value_kind:     hidden_block_count_y
      - .offset:         64
        .size:           4
        .value_kind:     hidden_block_count_z
      - .offset:         68
        .size:           2
        .value_kind:     hidden_group_size_x
      - .offset:         70
        .size:           2
        .value_kind:     hidden_group_size_y
      - .offset:         72
        .size:           2
        .value_kind:     hidden_group_size_z
      - .offset:         74
        .size:           2
        .value_kind:     hidden_remainder_x
      - .offset:         76
        .size:           2
        .value_kind:     hidden_remainder_y
      - .offset:         78
        .size:           2
        .value_kind:     hidden_remainder_z
      - .offset:         96
        .size:           8
        .value_kind:     hidden_global_offset_x
      - .offset:         104
        .size:           8
        .value_kind:     hidden_global_offset_y
      - .offset:         112
        .size:           8
        .value_kind:     hidden_global_offset_z
      - .offset:         120
        .size:           2
        .value_kind:     hidden_grid_dims
    .group_segment_fixed_size: 0
    .kernarg_segment_align: 8
    .kernarg_segment_size: 312
    .language:       OpenCL C
    .language_version:
      - 2
      - 0
    .max_flat_workgroup_size: 128
    .name:           _Z13topk_moe_cudaILi512ELb0EEvPKfPfPiS2_iiff15topk_moe_config
    .private_segment_fixed_size: 0
    .sgpr_count:     52
    .sgpr_spill_count: 0
    .symbol:         _Z13topk_moe_cudaILi512ELb0EEvPKfPfPiS2_iiff15topk_moe_config.kd
    .uniform_work_group_size: 1
    .uses_dynamic_stack: false
    .vgpr_count:     77
    .vgpr_spill_count: 0
    .wavefront_size: 64
  - .agpr_count:     0
    .args:
      - .address_space:  global
        .offset:         0
        .size:           8
        .value_kind:     global_buffer
      - .address_space:  global
        .offset:         8
        .size:           8
        .value_kind:     global_buffer
      - .address_space:  global
        .offset:         16
        .size:           8
        .value_kind:     global_buffer
      - .address_space:  global
        .offset:         24
        .size:           8
        .value_kind:     global_buffer
      - .offset:         32
        .size:           4
        .value_kind:     by_value
      - .offset:         36
        .size:           4
        .value_kind:     by_value
      - .offset:         40
        .size:           4
        .value_kind:     by_value
      - .offset:         44
        .size:           4
        .value_kind:     by_value
      - .offset:         48
        .size:           3
        .value_kind:     by_value
      - .offset:         56
        .size:           4
        .value_kind:     hidden_block_count_x
      - .offset:         60
        .size:           4
        .value_kind:     hidden_block_count_y
      - .offset:         64
        .size:           4
        .value_kind:     hidden_block_count_z
      - .offset:         68
        .size:           2
        .value_kind:     hidden_group_size_x
      - .offset:         70
        .size:           2
        .value_kind:     hidden_group_size_y
      - .offset:         72
        .size:           2
        .value_kind:     hidden_group_size_z
      - .offset:         74
        .size:           2
        .value_kind:     hidden_remainder_x
      - .offset:         76
        .size:           2
        .value_kind:     hidden_remainder_y
      - .offset:         78
        .size:           2
        .value_kind:     hidden_remainder_z
      - .offset:         96
        .size:           8
        .value_kind:     hidden_global_offset_x
      - .offset:         104
        .size:           8
        .value_kind:     hidden_global_offset_y
      - .offset:         112
        .size:           8
        .value_kind:     hidden_global_offset_z
      - .offset:         120
        .size:           2
        .value_kind:     hidden_grid_dims
    .group_segment_fixed_size: 0
    .kernarg_segment_align: 8
    .kernarg_segment_size: 312
    .language:       OpenCL C
    .language_version:
      - 2
      - 0
    .max_flat_workgroup_size: 128
    .name:           _Z13topk_moe_cudaILi576ELb0EEvPKfPfPiS2_iiff15topk_moe_config
    .private_segment_fixed_size: 0
    .sgpr_count:     56
    .sgpr_spill_count: 0
    .symbol:         _Z13topk_moe_cudaILi576ELb0EEvPKfPfPiS2_iiff15topk_moe_config.kd
    .uniform_work_group_size: 1
    .uses_dynamic_stack: false
    .vgpr_count:     99
    .vgpr_spill_count: 0
    .wavefront_size: 64
amdhsa.target:   amdgcn-amd-amdhsa--gfx950
amdhsa.version:
  - 1
  - 2
...

	.end_amdgpu_metadata
